;; amdgpu-corpus repo=ROCm/rocFFT kind=compiled arch=gfx1201 opt=O3
	.text
	.amdgcn_target "amdgcn-amd-amdhsa--gfx1201"
	.amdhsa_code_object_version 6
	.protected	bluestein_single_fwd_len34_dim1_dp_op_CI_CI ; -- Begin function bluestein_single_fwd_len34_dim1_dp_op_CI_CI
	.globl	bluestein_single_fwd_len34_dim1_dp_op_CI_CI
	.p2align	8
	.type	bluestein_single_fwd_len34_dim1_dp_op_CI_CI,@function
bluestein_single_fwd_len34_dim1_dp_op_CI_CI: ; @bluestein_single_fwd_len34_dim1_dp_op_CI_CI
; %bb.0:
	s_load_b128 s[8:11], s[0:1], 0x28
	v_mul_u32_u24_e32 v1, 0xf10, v0
	s_mov_b32 s2, exec_lo
	s_delay_alu instid0(VALU_DEP_1) | instskip(NEXT) | instid1(VALU_DEP_1)
	v_lshrrev_b32_e32 v1, 16, v1
	v_mad_co_u64_u32 v[3:4], null, ttmp9, 15, v[1:2]
	v_mov_b32_e32 v4, 0
	s_wait_kmcnt 0x0
	s_delay_alu instid0(VALU_DEP_1)
	v_cmpx_gt_u64_e64 s[8:9], v[3:4]
	s_cbranch_execz .LBB0_15
; %bb.1:
	v_mul_hi_u32 v2, 0x88888889, v3
	v_mul_lo_u16 v1, v1, 17
	s_clause 0x1
	s_load_b64 s[8:9], s[0:1], 0x0
	s_load_b64 s[12:13], s[0:1], 0x38
	s_delay_alu instid0(VALU_DEP_1) | instskip(NEXT) | instid1(VALU_DEP_3)
	v_sub_nc_u16 v0, v0, v1
	v_lshrrev_b32_e32 v2, 3, v2
	s_delay_alu instid0(VALU_DEP_2) | instskip(SKIP_2) | instid1(VALU_DEP_4)
	v_and_b32_e32 v217, 0xffff, v0
	v_cmp_gt_u16_e32 vcc_lo, 2, v0
	v_mov_b32_e32 v0, v3
	v_mul_lo_u32 v1, v2, 15
	s_delay_alu instid0(VALU_DEP_4)
	v_lshlrev_b32_e32 v218, 4, v217
	v_or_b32_e32 v234, 14, v217
	v_or_b32_e32 v233, 16, v217
	;; [unrolled: 1-line block ×5, first 2 shown]
	scratch_store_b64 off, v[0:1], off offset:8 ; 8-byte Folded Spill
	v_sub_nc_u32_e32 v0, v3, v1
	v_or_b32_e32 v1, 2, v217
	v_or_b32_e32 v128, 24, v217
	;; [unrolled: 1-line block ×3, first 2 shown]
	s_delay_alu instid0(VALU_DEP_4)
	v_mul_u32_u24_e32 v74, 34, v0
	scratch_store_b32 off, v1, off offset:36 ; 4-byte Folded Spill
	v_or_b32_e32 v1, 4, v217
	v_or_b32_e32 v0, 10, v217
	s_clause 0x1
	scratch_store_b32 off, v1, off offset:32
	scratch_store_b32 off, v0, off offset:20
	v_or_b32_e32 v1, 6, v217
	v_or_b32_e32 v0, 12, v217
	s_clause 0x1
	scratch_store_b32 off, v1, off offset:28
	scratch_store_b32 off, v0, off offset:16
	v_or_b32_e32 v0, v74, v217
	v_or_b32_e32 v1, 8, v217
	s_delay_alu instid0(VALU_DEP_2) | instskip(SKIP_4) | instid1(SALU_CYCLE_1)
	v_lshlrev_b32_e32 v0, 4, v0
	s_clause 0x1
	scratch_store_b32 off, v1, off offset:24
	scratch_store_b32 off, v0, off offset:4
	s_mov_b32 s3, exec_lo
	s_and_b32 s2, s3, vcc_lo
	scratch_store_b32 off, v74, off         ; 4-byte Folded Spill
	s_mov_b32 exec_lo, s2
	s_cbranch_execz .LBB0_3
; %bb.2:
	s_load_b64 s[4:5], s[0:1], 0x18
	v_or_b32_e32 v42, 12, v217
	v_or_b32_e32 v35, 2, v217
	v_or_b32_e32 v39, 10, v217
	v_or_b32_e32 v36, 4, v217
	v_or_b32_e32 v37, 6, v217
	v_or_b32_e32 v38, 8, v217
	v_or_b32_e32 v110, 30, v217
	v_or_b32_e32 v108, 28, v217
	s_wait_kmcnt 0x0
	s_load_b128 s[4:7], s[4:5], 0x0
	s_clause 0x3
	global_load_b128 v[0:3], v218, s[8:9]
	global_load_b128 v[4:7], v218, s[8:9] offset:32
	global_load_b128 v[8:11], v218, s[8:9] offset:64
	;; [unrolled: 1-line block ×3, first 2 shown]
	scratch_load_b64 v[16:17], off, off offset:8 ; 8-byte Folded Reload
	s_wait_kmcnt 0x0
	v_mad_co_u64_u32 v[40:41], null, s4, v42, 0
	v_mad_co_u64_u32 v[18:19], null, s4, v217, 0
	;; [unrolled: 1-line block ×16, first 2 shown]
	s_wait_loadcnt 0x0
	v_dual_mov_b32 v29, v41 :: v_dual_mov_b32 v30, v16
	s_delay_alu instid0(VALU_DEP_1) | instskip(NEXT) | instid1(VALU_DEP_1)
	v_mad_co_u64_u32 v[16:17], null, s6, v30, 0
	v_mad_co_u64_u32 v[30:31], null, s7, v30, v[17:18]
	v_mov_b32_e32 v28, v33
	v_mad_co_u64_u32 v[33:34], null, s5, v217, v[19:20]
	v_mad_co_u64_u32 v[34:35], null, s5, v35, v[21:22]
	;; [unrolled: 1-line block ×3, first 2 shown]
	v_mov_b32_e32 v17, v30
	v_mad_co_u64_u32 v[36:37], null, s5, v37, v[25:26]
	v_mov_b32_e32 v19, v33
	v_mov_b32_e32 v21, v34
	s_delay_alu instid0(VALU_DEP_4)
	v_lshlrev_b64_e32 v[16:17], 4, v[16:17]
	v_mad_co_u64_u32 v[37:38], null, s5, v38, v[27:28]
	v_mov_b32_e32 v23, v35
	v_dual_mov_b32 v25, v36 :: v_dual_mov_b32 v36, v51
	v_lshlrev_b64_e32 v[18:19], 4, v[18:19]
	v_add_co_u32 v48, s2, s10, v16
	v_mad_co_u64_u32 v[38:39], null, s5, v39, v[28:29]
	v_lshlrev_b64_e32 v[20:21], 4, v[20:21]
	v_add_co_ci_u32_e64 v49, s2, s11, v17, s2
	v_lshlrev_b64_e32 v[22:23], 4, v[22:23]
	v_add_co_u32 v18, s2, v48, v18
	v_mov_b32_e32 v27, v37
	s_wait_alu 0xf1ff
	v_add_co_ci_u32_e64 v19, s2, v49, v19, s2
	v_lshlrev_b64_e32 v[16:17], 4, v[24:25]
	v_add_co_u32 v20, s2, v48, v20
	v_mov_b32_e32 v33, v38
	s_wait_alu 0xf1ff
	v_add_co_ci_u32_e64 v21, s2, v49, v21, s2
	v_add_co_u32 v22, s2, v48, v22
	v_lshlrev_b64_e32 v[34:35], 4, v[26:27]
	s_wait_alu 0xf1ff
	v_add_co_ci_u32_e64 v23, s2, v49, v23, s2
	v_add_co_u32 v16, s2, v48, v16
	v_lshlrev_b64_e32 v[32:33], 4, v[32:33]
	v_mad_co_u64_u32 v[44:45], null, s5, v234, v[36:37]
	v_mad_co_u64_u32 v[41:42], null, s5, v42, v[29:30]
	s_wait_alu 0xf1ff
	v_add_co_ci_u32_e64 v17, s2, v49, v17, s2
	v_add_co_u32 v42, s2, v48, v34
	s_wait_alu 0xf1ff
	v_add_co_ci_u32_e64 v43, s2, v49, v35, s2
	v_add_co_u32 v52, s2, v48, v32
	s_wait_alu 0xf1ff
	v_add_co_ci_u32_e64 v53, s2, v49, v33, s2
	v_mov_b32_e32 v51, v44
	v_lshlrev_b64_e32 v[54:55], 4, v[40:41]
	s_clause 0x3
	global_load_b128 v[28:31], v[18:19], off
	global_load_b128 v[24:27], v[20:21], off
	;; [unrolled: 1-line block ×4, first 2 shown]
	s_clause 0x1
	global_load_b128 v[36:39], v218, s[8:9] offset:128
	global_load_b128 v[32:35], v218, s[8:9] offset:160
	s_clause 0x1
	global_load_b128 v[44:47], v[42:43], off
	global_load_b128 v[40:43], v[52:53], off
	v_mov_b32_e32 v52, v67
	v_lshlrev_b64_e32 v[50:51], 4, v[50:51]
	v_add_co_u32 v58, s2, v48, v54
	s_wait_alu 0xf1ff
	v_add_co_ci_u32_e64 v59, s2, v49, v55, s2
	v_mad_co_u64_u32 v[60:61], null, s5, v233, v[52:53]
	s_delay_alu instid0(VALU_DEP_4)
	v_add_co_u32 v62, s2, v48, v50
	v_mov_b32_e32 v61, v69
	s_wait_alu 0xf1ff
	v_add_co_ci_u32_e64 v63, s2, v49, v51, s2
	s_clause 0x1
	global_load_b128 v[50:53], v218, s[8:9] offset:192
	global_load_b128 v[54:57], v218, s[8:9] offset:224
	v_mov_b32_e32 v67, v60
	v_mad_co_u64_u32 v[69:70], null, s5, v232, v[61:62]
	v_mov_b32_e32 v70, v75
	s_clause 0x1
	global_load_b128 v[58:61], v[58:59], off
	global_load_b128 v[62:65], v[62:63], off
	v_lshlrev_b64_e32 v[66:67], 4, v[66:67]
	v_mad_co_u64_u32 v[75:76], null, s5, v231, v[70:71]
	v_mov_b32_e32 v70, v83
	v_lshlrev_b64_e32 v[78:79], 4, v[68:69]
	s_delay_alu instid0(VALU_DEP_4) | instskip(SKIP_3) | instid1(VALU_DEP_4)
	v_add_co_u32 v76, s2, v48, v66
	s_wait_alu 0xf1ff
	v_add_co_ci_u32_e64 v77, s2, v49, v67, s2
	v_mad_co_u64_u32 v[80:81], null, s5, v230, v[70:71]
	v_add_co_u32 v78, s2, v48, v78
	s_wait_alu 0xf1ff
	v_add_co_ci_u32_e64 v79, s2, v49, v79, s2
	s_clause 0x1
	global_load_b128 v[66:69], v218, s[8:9] offset:256
	global_load_b128 v[70:73], v218, s[8:9] offset:288
	v_lshlrev_b64_e32 v[84:85], 4, v[74:75]
	v_mov_b32_e32 v83, v80
	s_clause 0x1
	global_load_b128 v[74:77], v[76:77], off
	global_load_b128 v[78:81], v[78:79], off
	v_add_co_u32 v90, s2, v48, v84
	v_mov_b32_e32 v84, v99
	v_lshlrev_b64_e32 v[82:83], 4, v[82:83]
	s_wait_alu 0xf1ff
	v_add_co_ci_u32_e64 v91, s2, v49, v85, s2
	s_delay_alu instid0(VALU_DEP_3) | instskip(NEXT) | instid1(VALU_DEP_3)
	v_mad_co_u64_u32 v[92:93], null, s5, v128, v[84:85]
	v_add_co_u32 v94, s2, v48, v82
	v_mov_b32_e32 v93, v101
	s_wait_alu 0xf1ff
	v_add_co_ci_u32_e64 v95, s2, v49, v83, s2
	s_clause 0x1
	global_load_b128 v[82:85], v218, s[8:9] offset:320
	global_load_b128 v[86:89], v218, s[8:9] offset:352
	v_mov_b32_e32 v99, v92
	v_mad_co_u64_u32 v[104:105], null, s5, v229, v[93:94]
	v_or_b32_e32 v105, 32, v217
	s_clause 0x1
	global_load_b128 v[90:93], v[90:91], off
	global_load_b128 v[94:97], v[94:95], off
	v_lshlrev_b64_e32 v[98:99], 4, v[98:99]
	v_mad_co_u64_u32 v[118:119], null, s4, v105, 0
	v_mov_b32_e32 v101, v104
	v_mad_co_u64_u32 v[103:104], null, s5, v108, v[103:104]
	v_mov_b32_e32 v104, v107
	v_add_co_u32 v108, s2, v48, v98
	s_wait_alu 0xf1ff
	v_add_co_ci_u32_e64 v109, s2, v49, v99, s2
	v_lshlrev_b64_e32 v[98:99], 4, v[100:101]
	v_mov_b32_e32 v100, v119
	v_mad_co_u64_u32 v[110:111], null, s5, v110, v[104:105]
	v_lshlrev_b64_e32 v[113:114], 4, v[102:103]
	s_delay_alu instid0(VALU_DEP_3) | instskip(SKIP_1) | instid1(VALU_DEP_4)
	v_mad_co_u64_u32 v[115:116], null, s5, v105, v[100:101]
	v_add_co_u32 v111, s2, v48, v98
	v_mov_b32_e32 v107, v110
	s_wait_alu 0xf1ff
	v_add_co_ci_u32_e64 v112, s2, v49, v99, s2
	v_add_co_u32 v116, s2, v48, v113
	v_mov_b32_e32 v119, v115
	v_lshlrev_b64_e32 v[120:121], 4, v[106:107]
	s_wait_alu 0xf1ff
	v_add_co_ci_u32_e64 v117, s2, v49, v114, s2
	s_clause 0x1
	global_load_b128 v[98:101], v218, s[8:9] offset:384
	global_load_b128 v[102:105], v218, s[8:9] offset:416
	v_lshlrev_b64_e32 v[118:119], 4, v[118:119]
	s_clause 0x2
	global_load_b128 v[106:109], v[108:109], off
	global_load_b128 v[110:113], v[111:112], off
	;; [unrolled: 1-line block ×3, first 2 shown]
	v_add_co_u32 v126, s2, v48, v120
	s_wait_alu 0xf1ff
	v_add_co_ci_u32_e64 v127, s2, v49, v121, s2
	v_add_co_u32 v48, s2, v48, v118
	s_wait_alu 0xf1ff
	v_add_co_ci_u32_e64 v49, s2, v49, v119, s2
	s_clause 0x1
	global_load_b128 v[118:121], v218, s[8:9] offset:448
	global_load_b128 v[122:125], v218, s[8:9] offset:480
	global_load_b128 v[129:132], v[126:127], off
	global_load_b128 v[133:136], v218, s[8:9] offset:512
	global_load_b128 v[137:140], v[48:49], off
	s_wait_loadcnt 0x1d
	v_mul_f64_e32 v[48:49], v[30:31], v[2:3]
	v_mul_f64_e32 v[2:3], v[28:29], v[2:3]
	s_wait_loadcnt 0x1c
	v_mul_f64_e32 v[126:127], v[26:27], v[6:7]
	v_mul_f64_e32 v[6:7], v[24:25], v[6:7]
	;; [unrolled: 3-line block ×5, first 2 shown]
	v_mul_f64_e32 v[145:146], v[46:47], v[38:39]
	v_mul_f64_e32 v[38:39], v[44:45], v[38:39]
	s_wait_loadcnt 0x13
	v_mul_f64_e32 v[149:150], v[60:61], v[52:53]
	v_mul_f64_e32 v[52:53], v[58:59], v[52:53]
	s_wait_loadcnt 0x12
	v_mul_f64_e32 v[151:152], v[64:65], v[56:57]
	v_mul_f64_e32 v[56:57], v[62:63], v[56:57]
	v_fma_f64 v[28:29], v[28:29], v[0:1], v[48:49]
	v_fma_f64 v[30:31], v[30:31], v[0:1], -v[2:3]
	v_fma_f64 v[0:1], v[24:25], v[4:5], v[126:127]
	v_fma_f64 v[2:3], v[26:27], v[4:5], -v[6:7]
	;; [unrolled: 2-line block ×3, first 2 shown]
	s_wait_loadcnt 0xf
	v_mul_f64_e32 v[153:154], v[76:77], v[68:69]
	v_mul_f64_e32 v[68:69], v[74:75], v[68:69]
	v_fma_f64 v[8:9], v[16:17], v[12:13], v[143:144]
	v_fma_f64 v[10:11], v[18:19], v[12:13], -v[14:15]
	v_fma_f64 v[16:17], v[40:41], v[32:33], v[147:148]
	v_fma_f64 v[18:19], v[42:43], v[32:33], -v[34:35]
	s_wait_loadcnt 0xe
	v_mul_f64_e32 v[155:156], v[80:81], v[72:73]
	v_mul_f64_e32 v[72:73], v[78:79], v[72:73]
	v_fma_f64 v[12:13], v[44:45], v[36:37], v[145:146]
	v_fma_f64 v[14:15], v[46:47], v[36:37], -v[38:39]
	v_fma_f64 v[20:21], v[58:59], v[50:51], v[149:150]
	v_fma_f64 v[22:23], v[60:61], v[50:51], -v[52:53]
	;; [unrolled: 2-line block ×3, first 2 shown]
	s_wait_loadcnt 0xb
	v_mul_f64_e32 v[157:158], v[92:93], v[84:85]
	v_mul_f64_e32 v[84:85], v[90:91], v[84:85]
	s_wait_loadcnt 0xa
	v_mul_f64_e32 v[159:160], v[96:97], v[88:89]
	v_mul_f64_e32 v[88:89], v[94:95], v[88:89]
	v_fma_f64 v[32:33], v[74:75], v[66:67], v[153:154]
	scratch_load_b32 v74, off, off          ; 4-byte Folded Reload
	v_fma_f64 v[34:35], v[76:77], v[66:67], -v[68:69]
	scratch_load_b32 v69, off, off offset:4 ; 4-byte Folded Reload
	v_fma_f64 v[36:37], v[78:79], v[70:71], v[155:156]
	v_fma_f64 v[38:39], v[80:81], v[70:71], -v[72:73]
	s_wait_loadcnt 0x9
	v_mul_f64_e32 v[161:162], v[108:109], v[100:101]
	v_mul_f64_e32 v[100:101], v[106:107], v[100:101]
	s_wait_loadcnt 0x8
	v_mul_f64_e32 v[163:164], v[112:113], v[104:105]
	v_mul_f64_e32 v[104:105], v[110:111], v[104:105]
	v_fma_f64 v[40:41], v[90:91], v[82:83], v[157:158]
	v_fma_f64 v[42:43], v[92:93], v[82:83], -v[84:85]
	v_fma_f64 v[44:45], v[94:95], v[86:87], v[159:160]
	s_wait_loadcnt 0x6
	v_mul_f64_e32 v[165:166], v[116:117], v[120:121]
	v_mul_f64_e32 v[120:121], v[114:115], v[120:121]
	s_wait_loadcnt 0x4
	v_mul_f64_e32 v[167:168], v[131:132], v[124:125]
	v_mul_f64_e32 v[124:125], v[129:130], v[124:125]
	;; [unrolled: 3-line block ×3, first 2 shown]
	v_fma_f64 v[46:47], v[96:97], v[86:87], -v[88:89]
	v_fma_f64 v[48:49], v[106:107], v[98:99], v[161:162]
	v_fma_f64 v[50:51], v[108:109], v[98:99], -v[100:101]
	v_fma_f64 v[52:53], v[110:111], v[102:103], v[163:164]
	;; [unrolled: 2-line block ×5, first 2 shown]
	v_fma_f64 v[66:67], v[139:140], v[133:134], -v[135:136]
	s_wait_loadcnt 0x1
	v_lshl_add_u32 v68, v74, 4, v218
	s_wait_loadcnt 0x0
	ds_store_b128 v69, v[28:31]
	ds_store_b128 v68, v[0:3] offset:32
	ds_store_b128 v68, v[4:7] offset:64
	;; [unrolled: 1-line block ×16, first 2 shown]
.LBB0_3:
	s_or_b32 exec_lo, exec_lo, s3
	s_clause 0x1
	s_load_b64 s[2:3], s[0:1], 0x20
	s_load_b64 s[4:5], s[0:1], 0x8
	v_lshlrev_b32_e32 v255, 4, v74
	global_wb scope:SCOPE_SE
	s_wait_storecnt_dscnt 0x0
	s_wait_kmcnt 0x0
	s_barrier_signal -1
	s_barrier_wait -1
	global_inv scope:SCOPE_SE
                                        ; implicit-def: $vgpr118_vgpr119
                                        ; implicit-def: $vgpr114_vgpr115
                                        ; implicit-def: $vgpr110_vgpr111
                                        ; implicit-def: $vgpr106_vgpr107
                                        ; implicit-def: $vgpr102_vgpr103
                                        ; implicit-def: $vgpr98_vgpr99
                                        ; implicit-def: $vgpr94_vgpr95
                                        ; implicit-def: $vgpr90_vgpr91
                                        ; implicit-def: $vgpr86_vgpr87
                                        ; implicit-def: $vgpr82_vgpr83
                                        ; implicit-def: $vgpr78_vgpr79
                                        ; implicit-def: $vgpr74_vgpr75
                                        ; implicit-def: $vgpr54_vgpr55
                                        ; implicit-def: $vgpr70_vgpr71
                                        ; implicit-def: $vgpr2_vgpr3
                                        ; implicit-def: $vgpr120_vgpr121
                                        ; implicit-def: $vgpr124_vgpr125
	s_and_saveexec_b32 s0, vcc_lo
	s_cbranch_execz .LBB0_5
; %bb.4:
	scratch_load_b32 v0, off, off offset:4  ; 4-byte Folded Reload
	v_lshl_add_u32 v4, v217, 4, v255
	s_wait_loadcnt 0x0
	ds_load_b128 v[0:3], v0
	ds_load_b128 v[68:71], v4 offset:32
	ds_load_b128 v[52:55], v4 offset:64
	;; [unrolled: 1-line block ×16, first 2 shown]
.LBB0_5:
	s_wait_alu 0xfffe
	s_or_b32 exec_lo, exec_lo, s0
	s_wait_dscnt 0x0
	v_add_f64_e64 v[60:61], v[70:71], -v[126:127]
	s_mov_b32 s16, 0x5d8e7cdc
	s_mov_b32 s17, 0xbfd71e95
	v_add_f64_e32 v[133:134], v[68:69], v[124:125]
	v_add_f64_e64 v[62:63], v[54:55], -v[122:123]
	s_mov_b32 s0, 0x370991
	s_mov_b32 s22, 0x2a9d6da3
	;; [unrolled: 1-line block ×4, first 2 shown]
	v_add_f64_e32 v[135:136], v[52:53], v[120:121]
	v_add_f64_e64 v[64:65], v[68:69], -v[124:125]
	s_mov_b32 s6, 0x75d4884
	s_mov_b32 s7, 0x3fe7a5f6
	v_add_f64_e32 v[141:142], v[70:71], v[126:127]
	v_add_f64_e64 v[66:67], v[52:53], -v[120:121]
	v_add_f64_e32 v[143:144], v[54:55], v[122:123]
	v_add_f64_e32 v[167:168], v[116:117], v[72:73]
	s_mov_b32 s14, 0x2b2883cd
	s_mov_b32 s15, 0x3fdc86fa
	v_add_f64_e64 v[149:150], v[74:75], -v[118:119]
	v_add_f64_e64 v[171:172], v[72:73], -v[116:117]
	s_mov_b32 s10, 0x7c9e640b
	s_mov_b32 s11, 0xbfeca52d
	v_add_f64_e32 v[151:152], v[118:119], v[74:75]
	v_add_f64_e32 v[181:182], v[112:113], v[76:77]
	s_mov_b32 s20, 0x3259b75e
	s_mov_b32 s21, 0x3fb79ee6
	v_add_f64_e64 v[157:158], v[78:79], -v[114:115]
	v_add_f64_e64 v[183:184], v[76:77], -v[112:113]
	s_mov_b32 s18, 0xeb564b22
	s_mov_b32 s19, 0xbfefdd0d
	v_add_f64_e32 v[159:160], v[114:115], v[78:79]
	v_add_f64_e32 v[193:194], v[108:109], v[80:81]
	s_mov_b32 s26, 0xc61f0d01
	s_mov_b32 s27, 0xbfd183b1
	v_add_f64_e64 v[165:166], v[82:83], -v[110:111]
	v_add_f64_e64 v[195:196], v[80:81], -v[108:109]
	s_mov_b32 s24, 0x923c349f
	v_mul_f64_e32 v[129:130], s[16:17], v[60:61]
	s_mov_b32 s25, 0xbfeec746
	v_add_f64_e32 v[169:170], v[110:111], v[82:83]
	v_add_f64_e32 v[205:206], v[104:105], v[84:85]
	v_mul_f64_e32 v[131:132], s[22:23], v[62:63]
	s_mov_b32 s30, 0x6ed5f1bb
	s_mov_b32 s31, 0xbfe348c8
	v_add_f64_e64 v[177:178], v[86:87], -v[106:107]
	v_add_f64_e64 v[207:208], v[84:85], -v[104:105]
	s_mov_b32 s28, 0x6c9a05f6
	v_mul_f64_e32 v[139:140], s[16:17], v[64:65]
	s_mov_b32 s29, 0xbfe9895b
	v_add_f64_e32 v[179:180], v[106:107], v[86:87]
	v_add_f64_e32 v[209:210], v[100:101], v[88:89]
	v_mul_f64_e32 v[137:138], s[22:23], v[66:67]
	s_mov_b32 s36, 0x910ea3b9
	v_mul_f64_e32 v[145:146], s[14:15], v[167:168]
	s_mov_b32 s37, 0xbfeb34fa
	v_add_f64_e64 v[189:190], v[90:91], -v[102:103]
	v_add_f64_e64 v[211:212], v[88:89], -v[100:101]
	s_wait_alu 0xfffe
	v_mul_f64_e32 v[147:148], s[10:11], v[171:172]
	s_mov_b32 s34, 0x4363dd80
	s_mov_b32 s35, 0xbfe0d888
	v_add_f64_e32 v[191:192], v[102:103], v[90:91]
	v_mul_f64_e32 v[153:154], s[20:21], v[181:182]
	v_add_f64_e32 v[213:214], v[96:97], v[92:93]
	s_mov_b32 s40, 0x7faef3
	s_mov_b32 s41, 0xbfef7484
	v_mul_f64_e32 v[155:156], s[18:19], v[183:184]
	v_add_f64_e64 v[201:202], v[94:95], -v[98:99]
	v_add_f64_e64 v[215:216], v[92:93], -v[96:97]
	s_mov_b32 s38, 0xacd6c6b4
	v_mul_f64_e32 v[161:162], s[26:27], v[193:194]
	s_mov_b32 s39, 0xbfc7851a
	v_add_f64_e32 v[203:204], v[98:99], v[94:95]
	v_mul_f64_e32 v[12:13], s[22:23], v[60:61]
	v_mul_f64_e32 v[163:164], s[24:25], v[195:196]
	;; [unrolled: 1-line block ×3, first 2 shown]
	v_fma_f64 v[4:5], v[133:134], s[0:1], v[129:130]
	v_mul_f64_e32 v[16:17], s[22:23], v[64:65]
	v_mul_f64_e32 v[18:19], s[18:19], v[66:67]
	;; [unrolled: 1-line block ×3, first 2 shown]
	v_fma_f64 v[6:7], v[135:136], s[6:7], v[131:132]
	s_mov_b32 s45, 0x3fe9895b
	s_mov_b32 s44, s28
	;; [unrolled: 1-line block ×3, first 2 shown]
	v_mul_f64_e32 v[175:176], s[28:29], v[207:208]
	s_mov_b32 s56, s38
	s_mov_b32 s49, 0x3fe0d888
	;; [unrolled: 1-line block ×4, first 2 shown]
	v_mul_f64_e32 v[185:186], s[36:37], v[209:210]
	v_fma_f64 v[8:9], v[143:144], s[6:7], -v[137:138]
	s_mov_b32 s46, s24
	s_mov_b32 s43, 0x3feca52d
	;; [unrolled: 1-line block ×4, first 2 shown]
	v_mul_f64_e32 v[187:188], s[34:35], v[211:212]
	s_mov_b32 s50, s16
	s_mov_b32 s55, 0x3fe58eea
	;; [unrolled: 1-line block ×5, first 2 shown]
	v_mul_f64_e32 v[197:198], s[40:41], v[213:214]
	global_wb scope:SCOPE_SE
	s_barrier_signal -1
	s_barrier_wait -1
	global_inv scope:SCOPE_SE
	v_mul_f64_e32 v[199:200], s[38:39], v[215:216]
	v_add_f64_e32 v[4:5], v[0:1], v[4:5]
	v_fma_f64 v[20:21], v[143:144], s[20:21], v[18:19]
	s_delay_alu instid0(VALU_DEP_2) | instskip(SKIP_1) | instid1(VALU_DEP_1)
	v_add_f64_e32 v[4:5], v[6:7], v[4:5]
	v_fma_f64 v[6:7], v[141:142], s[0:1], -v[139:140]
	v_add_f64_e32 v[6:7], v[2:3], v[6:7]
	s_delay_alu instid0(VALU_DEP_1) | instskip(SKIP_1) | instid1(VALU_DEP_1)
	v_add_f64_e32 v[6:7], v[8:9], v[6:7]
	v_fma_f64 v[8:9], v[149:150], s[10:11], v[145:146]
	v_add_f64_e32 v[4:5], v[8:9], v[4:5]
	v_fma_f64 v[8:9], v[151:152], s[14:15], -v[147:148]
	s_delay_alu instid0(VALU_DEP_1) | instskip(SKIP_1) | instid1(VALU_DEP_1)
	v_add_f64_e32 v[6:7], v[8:9], v[6:7]
	v_fma_f64 v[8:9], v[157:158], s[18:19], v[153:154]
	v_add_f64_e32 v[4:5], v[8:9], v[4:5]
	v_fma_f64 v[8:9], v[159:160], s[20:21], -v[155:156]
	;; [unrolled: 5-line block ×6, first 2 shown]
	s_delay_alu instid0(VALU_DEP_1) | instskip(SKIP_4) | instid1(VALU_DEP_4)
	v_add_f64_e32 v[10:11], v[4:5], v[6:7]
	v_fma_f64 v[4:5], v[133:134], s[6:7], -v[12:13]
	v_fma_f64 v[6:7], v[135:136], s[20:21], -v[14:15]
	v_fma_f64 v[12:13], v[133:134], s[6:7], v[12:13]
	v_fma_f64 v[14:15], v[135:136], s[20:21], v[14:15]
	v_add_f64_e32 v[4:5], v[0:1], v[4:5]
	s_delay_alu instid0(VALU_DEP_3) | instskip(NEXT) | instid1(VALU_DEP_2)
	v_add_f64_e32 v[12:13], v[0:1], v[12:13]
	v_add_f64_e32 v[4:5], v[6:7], v[4:5]
	v_fma_f64 v[6:7], v[141:142], s[6:7], v[16:17]
	s_delay_alu instid0(VALU_DEP_3) | instskip(SKIP_2) | instid1(VALU_DEP_4)
	v_add_f64_e32 v[12:13], v[14:15], v[12:13]
	v_fma_f64 v[14:15], v[141:142], s[6:7], -v[16:17]
	v_fma_f64 v[16:17], v[143:144], s[20:21], -v[18:19]
	v_add_f64_e32 v[6:7], v[2:3], v[6:7]
	s_delay_alu instid0(VALU_DEP_3) | instskip(NEXT) | instid1(VALU_DEP_2)
	v_add_f64_e32 v[14:15], v[2:3], v[14:15]
	v_add_f64_e32 v[6:7], v[20:21], v[6:7]
	v_mul_f64_e32 v[20:21], s[30:31], v[167:168]
	s_delay_alu instid0(VALU_DEP_3) | instskip(NEXT) | instid1(VALU_DEP_2)
	v_add_f64_e32 v[14:15], v[16:17], v[14:15]
	v_fma_f64 v[22:23], v[149:150], s[44:45], v[20:21]
	v_fma_f64 v[16:17], v[149:150], s[28:29], v[20:21]
	v_mul_f64_e32 v[20:21], s[10:11], v[60:61]
	s_delay_alu instid0(VALU_DEP_3) | instskip(SKIP_1) | instid1(VALU_DEP_4)
	v_add_f64_e32 v[4:5], v[22:23], v[4:5]
	v_mul_f64_e32 v[22:23], s[28:29], v[171:172]
	v_add_f64_e32 v[12:13], v[16:17], v[12:13]
	s_delay_alu instid0(VALU_DEP_2) | instskip(SKIP_2) | instid1(VALU_DEP_3)
	v_fma_f64 v[24:25], v[151:152], s[30:31], v[22:23]
	v_fma_f64 v[16:17], v[151:152], s[30:31], -v[22:23]
	v_mul_f64_e32 v[22:23], s[28:29], v[62:63]
	v_add_f64_e32 v[6:7], v[24:25], v[6:7]
	v_mul_f64_e32 v[24:25], s[40:41], v[181:182]
	s_delay_alu instid0(VALU_DEP_4) | instskip(NEXT) | instid1(VALU_DEP_2)
	v_add_f64_e32 v[14:15], v[16:17], v[14:15]
	v_fma_f64 v[26:27], v[157:158], s[56:57], v[24:25]
	v_fma_f64 v[16:17], v[157:158], s[38:39], v[24:25]
	v_mul_f64_e32 v[24:25], s[10:11], v[64:65]
	s_delay_alu instid0(VALU_DEP_3) | instskip(SKIP_1) | instid1(VALU_DEP_4)
	v_add_f64_e32 v[4:5], v[26:27], v[4:5]
	v_mul_f64_e32 v[26:27], s[38:39], v[183:184]
	v_add_f64_e32 v[12:13], v[16:17], v[12:13]
	s_delay_alu instid0(VALU_DEP_2) | instskip(SKIP_2) | instid1(VALU_DEP_3)
	v_fma_f64 v[28:29], v[159:160], s[40:41], v[26:27]
	v_fma_f64 v[16:17], v[159:160], s[40:41], -v[26:27]
	v_mul_f64_e32 v[26:27], s[28:29], v[66:67]
	v_add_f64_e32 v[6:7], v[28:29], v[6:7]
	v_mul_f64_e32 v[28:29], s[36:37], v[193:194]
	s_delay_alu instid0(VALU_DEP_4) | instskip(NEXT) | instid1(VALU_DEP_2)
	v_add_f64_e32 v[14:15], v[16:17], v[14:15]
	v_fma_f64 v[30:31], v[165:166], s[34:35], v[28:29]
	v_fma_f64 v[16:17], v[165:166], s[48:49], v[28:29]
	;; [unrolled: 1-line block ×3, first 2 shown]
	s_delay_alu instid0(VALU_DEP_3) | instskip(SKIP_1) | instid1(VALU_DEP_4)
	v_add_f64_e32 v[4:5], v[30:31], v[4:5]
	v_mul_f64_e32 v[30:31], s[48:49], v[195:196]
	v_add_f64_e32 v[12:13], v[16:17], v[12:13]
	s_delay_alu instid0(VALU_DEP_2) | instskip(SKIP_1) | instid1(VALU_DEP_2)
	v_fma_f64 v[32:33], v[169:170], s[36:37], v[30:31]
	v_fma_f64 v[16:17], v[169:170], s[36:37], -v[30:31]
	v_add_f64_e32 v[6:7], v[32:33], v[6:7]
	v_mul_f64_e32 v[32:33], s[26:27], v[205:206]
	s_delay_alu instid0(VALU_DEP_3) | instskip(NEXT) | instid1(VALU_DEP_2)
	v_add_f64_e32 v[14:15], v[16:17], v[14:15]
	v_fma_f64 v[34:35], v[177:178], s[24:25], v[32:33]
	v_fma_f64 v[16:17], v[177:178], s[46:47], v[32:33]
	s_delay_alu instid0(VALU_DEP_2) | instskip(SKIP_1) | instid1(VALU_DEP_3)
	v_add_f64_e32 v[4:5], v[34:35], v[4:5]
	v_mul_f64_e32 v[34:35], s[46:47], v[207:208]
	v_add_f64_e32 v[12:13], v[16:17], v[12:13]
	s_delay_alu instid0(VALU_DEP_2) | instskip(SKIP_1) | instid1(VALU_DEP_2)
	v_fma_f64 v[36:37], v[179:180], s[26:27], v[34:35]
	v_fma_f64 v[16:17], v[179:180], s[26:27], -v[34:35]
	v_add_f64_e32 v[6:7], v[36:37], v[6:7]
	v_mul_f64_e32 v[36:37], s[14:15], v[209:210]
	s_delay_alu instid0(VALU_DEP_3) | instskip(NEXT) | instid1(VALU_DEP_2)
	v_add_f64_e32 v[14:15], v[16:17], v[14:15]
	v_fma_f64 v[38:39], v[189:190], s[10:11], v[36:37]
	v_fma_f64 v[16:17], v[189:190], s[42:43], v[36:37]
	s_delay_alu instid0(VALU_DEP_2) | instskip(SKIP_1) | instid1(VALU_DEP_3)
	;; [unrolled: 13-line block ×3, first 2 shown]
	v_add_f64_e32 v[4:5], v[42:43], v[4:5]
	v_mul_f64_e32 v[42:43], s[50:51], v[215:216]
	v_add_f64_e32 v[16:17], v[16:17], v[12:13]
	v_fma_f64 v[12:13], v[133:134], s[14:15], -v[20:21]
	v_fma_f64 v[20:21], v[133:134], s[14:15], v[20:21]
	s_delay_alu instid0(VALU_DEP_4) | instskip(SKIP_1) | instid1(VALU_DEP_4)
	v_fma_f64 v[18:19], v[203:204], s[0:1], -v[42:43]
	v_fma_f64 v[44:45], v[203:204], s[0:1], v[42:43]
	v_add_f64_e32 v[12:13], v[0:1], v[12:13]
	s_delay_alu instid0(VALU_DEP_4) | instskip(NEXT) | instid1(VALU_DEP_4)
	v_add_f64_e32 v[20:21], v[0:1], v[20:21]
	v_add_f64_e32 v[18:19], v[18:19], v[14:15]
	v_fma_f64 v[14:15], v[135:136], s[30:31], -v[22:23]
	v_fma_f64 v[22:23], v[135:136], s[30:31], v[22:23]
	v_add_f64_e32 v[6:7], v[44:45], v[6:7]
	s_delay_alu instid0(VALU_DEP_3) | instskip(SKIP_1) | instid1(VALU_DEP_4)
	v_add_f64_e32 v[12:13], v[14:15], v[12:13]
	v_fma_f64 v[14:15], v[141:142], s[14:15], v[24:25]
	v_add_f64_e32 v[20:21], v[22:23], v[20:21]
	v_fma_f64 v[22:23], v[141:142], s[14:15], -v[24:25]
	v_fma_f64 v[24:25], v[143:144], s[30:31], -v[26:27]
	s_delay_alu instid0(VALU_DEP_4) | instskip(NEXT) | instid1(VALU_DEP_3)
	v_add_f64_e32 v[14:15], v[2:3], v[14:15]
	v_add_f64_e32 v[22:23], v[2:3], v[22:23]
	s_delay_alu instid0(VALU_DEP_2) | instskip(SKIP_1) | instid1(VALU_DEP_3)
	v_add_f64_e32 v[14:15], v[28:29], v[14:15]
	v_mul_f64_e32 v[28:29], s[40:41], v[167:168]
	v_add_f64_e32 v[22:23], v[24:25], v[22:23]
	s_delay_alu instid0(VALU_DEP_2) | instskip(SKIP_2) | instid1(VALU_DEP_3)
	v_fma_f64 v[30:31], v[149:150], s[38:39], v[28:29]
	v_fma_f64 v[24:25], v[149:150], s[56:57], v[28:29]
	v_mul_f64_e32 v[28:29], s[18:19], v[60:61]
	v_add_f64_e32 v[12:13], v[30:31], v[12:13]
	v_mul_f64_e32 v[30:31], s[56:57], v[171:172]
	s_delay_alu instid0(VALU_DEP_4) | instskip(NEXT) | instid1(VALU_DEP_2)
	v_add_f64_e32 v[20:21], v[24:25], v[20:21]
	v_fma_f64 v[32:33], v[151:152], s[40:41], v[30:31]
	v_fma_f64 v[24:25], v[151:152], s[40:41], -v[30:31]
	v_mul_f64_e32 v[30:31], s[38:39], v[62:63]
	s_delay_alu instid0(VALU_DEP_3) | instskip(SKIP_1) | instid1(VALU_DEP_4)
	v_add_f64_e32 v[14:15], v[32:33], v[14:15]
	v_mul_f64_e32 v[32:33], s[26:27], v[181:182]
	v_add_f64_e32 v[22:23], v[24:25], v[22:23]
	s_delay_alu instid0(VALU_DEP_2) | instskip(SKIP_2) | instid1(VALU_DEP_3)
	v_fma_f64 v[34:35], v[157:158], s[24:25], v[32:33]
	v_fma_f64 v[24:25], v[157:158], s[46:47], v[32:33]
	v_mul_f64_e32 v[32:33], s[18:19], v[64:65]
	v_add_f64_e32 v[12:13], v[34:35], v[12:13]
	v_mul_f64_e32 v[34:35], s[46:47], v[183:184]
	s_delay_alu instid0(VALU_DEP_4) | instskip(NEXT) | instid1(VALU_DEP_2)
	v_add_f64_e32 v[20:21], v[24:25], v[20:21]
	v_fma_f64 v[36:37], v[159:160], s[26:27], v[34:35]
	v_fma_f64 v[24:25], v[159:160], s[26:27], -v[34:35]
	v_mul_f64_e32 v[34:35], s[38:39], v[66:67]
	s_delay_alu instid0(VALU_DEP_3) | instskip(SKIP_1) | instid1(VALU_DEP_4)
	v_add_f64_e32 v[14:15], v[36:37], v[14:15]
	v_mul_f64_e32 v[36:37], s[6:7], v[193:194]
	v_add_f64_e32 v[22:23], v[24:25], v[22:23]
	s_delay_alu instid0(VALU_DEP_2) | instskip(SKIP_2) | instid1(VALU_DEP_3)
	v_fma_f64 v[38:39], v[165:166], s[22:23], v[36:37]
	v_fma_f64 v[24:25], v[165:166], s[54:55], v[36:37]
	v_fma_f64 v[36:37], v[143:144], s[40:41], v[34:35]
	v_add_f64_e32 v[12:13], v[38:39], v[12:13]
	v_mul_f64_e32 v[38:39], s[54:55], v[195:196]
	s_delay_alu instid0(VALU_DEP_4) | instskip(NEXT) | instid1(VALU_DEP_2)
	v_add_f64_e32 v[20:21], v[24:25], v[20:21]
	v_fma_f64 v[40:41], v[169:170], s[6:7], v[38:39]
	v_fma_f64 v[24:25], v[169:170], s[6:7], -v[38:39]
	s_delay_alu instid0(VALU_DEP_2) | instskip(SKIP_1) | instid1(VALU_DEP_3)
	v_add_f64_e32 v[14:15], v[40:41], v[14:15]
	v_mul_f64_e32 v[40:41], s[0:1], v[205:206]
	v_add_f64_e32 v[22:23], v[24:25], v[22:23]
	s_delay_alu instid0(VALU_DEP_2) | instskip(SKIP_1) | instid1(VALU_DEP_2)
	v_fma_f64 v[42:43], v[177:178], s[50:51], v[40:41]
	v_fma_f64 v[24:25], v[177:178], s[16:17], v[40:41]
	v_add_f64_e32 v[12:13], v[42:43], v[12:13]
	v_mul_f64_e32 v[42:43], s[16:17], v[207:208]
	s_delay_alu instid0(VALU_DEP_3) | instskip(NEXT) | instid1(VALU_DEP_2)
	v_add_f64_e32 v[20:21], v[24:25], v[20:21]
	v_fma_f64 v[44:45], v[179:180], s[0:1], v[42:43]
	v_fma_f64 v[24:25], v[179:180], s[0:1], -v[42:43]
	s_delay_alu instid0(VALU_DEP_2) | instskip(SKIP_1) | instid1(VALU_DEP_3)
	v_add_f64_e32 v[14:15], v[44:45], v[14:15]
	v_mul_f64_e32 v[44:45], s[20:21], v[209:210]
	v_add_f64_e32 v[22:23], v[24:25], v[22:23]
	s_delay_alu instid0(VALU_DEP_2) | instskip(SKIP_1) | instid1(VALU_DEP_2)
	v_fma_f64 v[46:47], v[189:190], s[52:53], v[44:45]
	v_fma_f64 v[24:25], v[189:190], s[18:19], v[44:45]
	v_add_f64_e32 v[12:13], v[46:47], v[12:13]
	v_mul_f64_e32 v[46:47], s[18:19], v[211:212]
	s_delay_alu instid0(VALU_DEP_3) | instskip(NEXT) | instid1(VALU_DEP_2)
	v_add_f64_e32 v[20:21], v[24:25], v[20:21]
	v_fma_f64 v[48:49], v[191:192], s[20:21], v[46:47]
	v_fma_f64 v[24:25], v[191:192], s[20:21], -v[46:47]
	s_delay_alu instid0(VALU_DEP_2) | instskip(SKIP_1) | instid1(VALU_DEP_3)
	v_add_f64_e32 v[14:15], v[48:49], v[14:15]
	v_mul_f64_e32 v[48:49], s[36:37], v[213:214]
	v_add_f64_e32 v[22:23], v[24:25], v[22:23]
	s_delay_alu instid0(VALU_DEP_2) | instskip(SKIP_1) | instid1(VALU_DEP_2)
	v_fma_f64 v[50:51], v[201:202], s[48:49], v[48:49]
	v_fma_f64 v[24:25], v[201:202], s[34:35], v[48:49]
	v_add_f64_e32 v[12:13], v[50:51], v[12:13]
	v_mul_f64_e32 v[50:51], s[34:35], v[215:216]
	s_delay_alu instid0(VALU_DEP_3) | instskip(SKIP_2) | instid1(VALU_DEP_4)
	v_add_f64_e32 v[20:21], v[24:25], v[20:21]
	v_fma_f64 v[24:25], v[133:134], s[20:21], -v[28:29]
	v_fma_f64 v[28:29], v[133:134], s[20:21], v[28:29]
	v_fma_f64 v[26:27], v[203:204], s[36:37], -v[50:51]
	v_fma_f64 v[56:57], v[203:204], s[36:37], v[50:51]
	s_delay_alu instid0(VALU_DEP_4) | instskip(NEXT) | instid1(VALU_DEP_4)
	v_add_f64_e32 v[24:25], v[0:1], v[24:25]
	v_add_f64_e32 v[28:29], v[0:1], v[28:29]
	s_delay_alu instid0(VALU_DEP_4) | instskip(SKIP_3) | instid1(VALU_DEP_3)
	v_add_f64_e32 v[22:23], v[26:27], v[22:23]
	v_fma_f64 v[26:27], v[135:136], s[40:41], -v[30:31]
	v_fma_f64 v[30:31], v[135:136], s[40:41], v[30:31]
	v_add_f64_e32 v[14:15], v[56:57], v[14:15]
	v_add_f64_e32 v[24:25], v[26:27], v[24:25]
	v_fma_f64 v[26:27], v[141:142], s[20:21], v[32:33]
	s_delay_alu instid0(VALU_DEP_4) | instskip(SKIP_2) | instid1(VALU_DEP_4)
	v_add_f64_e32 v[28:29], v[30:31], v[28:29]
	v_fma_f64 v[30:31], v[141:142], s[20:21], -v[32:33]
	v_fma_f64 v[32:33], v[143:144], s[40:41], -v[34:35]
	v_add_f64_e32 v[26:27], v[2:3], v[26:27]
	s_delay_alu instid0(VALU_DEP_3) | instskip(NEXT) | instid1(VALU_DEP_2)
	v_add_f64_e32 v[30:31], v[2:3], v[30:31]
	v_add_f64_e32 v[26:27], v[36:37], v[26:27]
	v_mul_f64_e32 v[36:37], s[26:27], v[167:168]
	s_delay_alu instid0(VALU_DEP_3) | instskip(NEXT) | instid1(VALU_DEP_2)
	v_add_f64_e32 v[30:31], v[32:33], v[30:31]
	v_fma_f64 v[38:39], v[149:150], s[24:25], v[36:37]
	v_fma_f64 v[32:33], v[149:150], s[46:47], v[36:37]
	v_mul_f64_e32 v[36:37], s[24:25], v[60:61]
	s_delay_alu instid0(VALU_DEP_3) | instskip(SKIP_1) | instid1(VALU_DEP_4)
	v_add_f64_e32 v[24:25], v[38:39], v[24:25]
	v_mul_f64_e32 v[38:39], s[46:47], v[171:172]
	v_add_f64_e32 v[28:29], v[32:33], v[28:29]
	s_delay_alu instid0(VALU_DEP_2) | instskip(SKIP_2) | instid1(VALU_DEP_3)
	v_fma_f64 v[40:41], v[151:152], s[26:27], v[38:39]
	v_fma_f64 v[32:33], v[151:152], s[26:27], -v[38:39]
	v_mul_f64_e32 v[38:39], s[48:49], v[62:63]
	v_add_f64_e32 v[26:27], v[40:41], v[26:27]
	v_mul_f64_e32 v[40:41], s[0:1], v[181:182]
	s_delay_alu instid0(VALU_DEP_4) | instskip(NEXT) | instid1(VALU_DEP_2)
	v_add_f64_e32 v[30:31], v[32:33], v[30:31]
	v_fma_f64 v[42:43], v[157:158], s[16:17], v[40:41]
	v_fma_f64 v[32:33], v[157:158], s[50:51], v[40:41]
	v_mul_f64_e32 v[40:41], s[24:25], v[64:65]
	s_delay_alu instid0(VALU_DEP_3) | instskip(SKIP_1) | instid1(VALU_DEP_4)
	v_add_f64_e32 v[24:25], v[42:43], v[24:25]
	v_mul_f64_e32 v[42:43], s[50:51], v[183:184]
	v_add_f64_e32 v[28:29], v[32:33], v[28:29]
	s_delay_alu instid0(VALU_DEP_2) | instskip(SKIP_2) | instid1(VALU_DEP_3)
	v_fma_f64 v[44:45], v[159:160], s[0:1], v[42:43]
	v_fma_f64 v[32:33], v[159:160], s[0:1], -v[42:43]
	v_mul_f64_e32 v[42:43], s[48:49], v[66:67]
	v_add_f64_e32 v[26:27], v[44:45], v[26:27]
	v_mul_f64_e32 v[44:45], s[14:15], v[193:194]
	s_delay_alu instid0(VALU_DEP_4) | instskip(NEXT) | instid1(VALU_DEP_2)
	v_add_f64_e32 v[30:31], v[32:33], v[30:31]
	v_fma_f64 v[46:47], v[165:166], s[42:43], v[44:45]
	v_fma_f64 v[32:33], v[165:166], s[10:11], v[44:45]
	;; [unrolled: 1-line block ×3, first 2 shown]
	s_delay_alu instid0(VALU_DEP_3) | instskip(SKIP_1) | instid1(VALU_DEP_4)
	v_add_f64_e32 v[24:25], v[46:47], v[24:25]
	v_mul_f64_e32 v[46:47], s[10:11], v[195:196]
	v_add_f64_e32 v[28:29], v[32:33], v[28:29]
	s_delay_alu instid0(VALU_DEP_2) | instskip(SKIP_1) | instid1(VALU_DEP_2)
	v_fma_f64 v[48:49], v[169:170], s[14:15], v[46:47]
	v_fma_f64 v[32:33], v[169:170], s[14:15], -v[46:47]
	v_add_f64_e32 v[26:27], v[48:49], v[26:27]
	v_mul_f64_e32 v[48:49], s[36:37], v[205:206]
	s_delay_alu instid0(VALU_DEP_3) | instskip(NEXT) | instid1(VALU_DEP_2)
	v_add_f64_e32 v[30:31], v[32:33], v[30:31]
	v_fma_f64 v[50:51], v[177:178], s[48:49], v[48:49]
	v_fma_f64 v[32:33], v[177:178], s[34:35], v[48:49]
	s_delay_alu instid0(VALU_DEP_2) | instskip(SKIP_1) | instid1(VALU_DEP_3)
	v_add_f64_e32 v[24:25], v[50:51], v[24:25]
	v_mul_f64_e32 v[50:51], s[34:35], v[207:208]
	v_add_f64_e32 v[28:29], v[32:33], v[28:29]
	s_delay_alu instid0(VALU_DEP_2) | instskip(SKIP_1) | instid1(VALU_DEP_2)
	v_fma_f64 v[56:57], v[179:180], s[36:37], v[50:51]
	v_fma_f64 v[32:33], v[179:180], s[36:37], -v[50:51]
	v_add_f64_e32 v[26:27], v[56:57], v[26:27]
	v_mul_f64_e32 v[56:57], s[30:31], v[209:210]
	s_delay_alu instid0(VALU_DEP_3) | instskip(NEXT) | instid1(VALU_DEP_2)
	v_add_f64_e32 v[30:31], v[32:33], v[30:31]
	v_fma_f64 v[58:59], v[189:190], s[28:29], v[56:57]
	v_fma_f64 v[32:33], v[189:190], s[44:45], v[56:57]
	s_delay_alu instid0(VALU_DEP_2) | instskip(SKIP_1) | instid1(VALU_DEP_3)
	;; [unrolled: 13-line block ×3, first 2 shown]
	v_add_f64_e32 v[24:25], v[237:238], v[24:25]
	v_mul_f64_e32 v[237:238], s[54:55], v[215:216]
	v_add_f64_e32 v[28:29], v[32:33], v[28:29]
	v_fma_f64 v[32:33], v[133:134], s[26:27], -v[36:37]
	v_fma_f64 v[36:37], v[133:134], s[26:27], v[36:37]
	s_delay_alu instid0(VALU_DEP_4) | instskip(SKIP_1) | instid1(VALU_DEP_4)
	v_fma_f64 v[34:35], v[203:204], s[6:7], -v[237:238]
	v_fma_f64 v[239:240], v[203:204], s[6:7], v[237:238]
	v_add_f64_e32 v[32:33], v[0:1], v[32:33]
	s_delay_alu instid0(VALU_DEP_4) | instskip(NEXT) | instid1(VALU_DEP_4)
	v_add_f64_e32 v[36:37], v[0:1], v[36:37]
	v_add_f64_e32 v[30:31], v[34:35], v[30:31]
	v_fma_f64 v[34:35], v[135:136], s[36:37], -v[38:39]
	v_fma_f64 v[38:39], v[135:136], s[36:37], v[38:39]
	v_add_f64_e32 v[26:27], v[239:240], v[26:27]
	s_delay_alu instid0(VALU_DEP_3) | instskip(SKIP_1) | instid1(VALU_DEP_4)
	v_add_f64_e32 v[32:33], v[34:35], v[32:33]
	v_fma_f64 v[34:35], v[141:142], s[26:27], v[40:41]
	v_add_f64_e32 v[36:37], v[38:39], v[36:37]
	v_fma_f64 v[38:39], v[141:142], s[26:27], -v[40:41]
	v_fma_f64 v[40:41], v[143:144], s[36:37], -v[42:43]
	s_delay_alu instid0(VALU_DEP_4) | instskip(NEXT) | instid1(VALU_DEP_3)
	v_add_f64_e32 v[34:35], v[2:3], v[34:35]
	v_add_f64_e32 v[38:39], v[2:3], v[38:39]
	s_delay_alu instid0(VALU_DEP_2) | instskip(SKIP_1) | instid1(VALU_DEP_3)
	v_add_f64_e32 v[34:35], v[44:45], v[34:35]
	v_mul_f64_e32 v[44:45], s[6:7], v[167:168]
	v_add_f64_e32 v[38:39], v[40:41], v[38:39]
	s_delay_alu instid0(VALU_DEP_2) | instskip(SKIP_2) | instid1(VALU_DEP_3)
	v_fma_f64 v[46:47], v[149:150], s[22:23], v[44:45]
	v_fma_f64 v[40:41], v[149:150], s[54:55], v[44:45]
	v_mul_f64_e32 v[44:45], s[28:29], v[60:61]
	v_add_f64_e32 v[32:33], v[46:47], v[32:33]
	v_mul_f64_e32 v[46:47], s[54:55], v[171:172]
	s_delay_alu instid0(VALU_DEP_4) | instskip(NEXT) | instid1(VALU_DEP_2)
	v_add_f64_e32 v[36:37], v[40:41], v[36:37]
	v_fma_f64 v[48:49], v[151:152], s[6:7], v[46:47]
	v_fma_f64 v[40:41], v[151:152], s[6:7], -v[46:47]
	v_mul_f64_e32 v[46:47], s[46:47], v[62:63]
	s_delay_alu instid0(VALU_DEP_3) | instskip(SKIP_1) | instid1(VALU_DEP_4)
	v_add_f64_e32 v[34:35], v[48:49], v[34:35]
	v_mul_f64_e32 v[48:49], s[14:15], v[181:182]
	v_add_f64_e32 v[38:39], v[40:41], v[38:39]
	s_delay_alu instid0(VALU_DEP_2) | instskip(SKIP_2) | instid1(VALU_DEP_3)
	v_fma_f64 v[50:51], v[157:158], s[42:43], v[48:49]
	v_fma_f64 v[40:41], v[157:158], s[10:11], v[48:49]
	v_mul_f64_e32 v[48:49], s[28:29], v[64:65]
	v_add_f64_e32 v[32:33], v[50:51], v[32:33]
	v_mul_f64_e32 v[50:51], s[10:11], v[183:184]
	s_delay_alu instid0(VALU_DEP_4) | instskip(NEXT) | instid1(VALU_DEP_2)
	v_add_f64_e32 v[36:37], v[40:41], v[36:37]
	v_fma_f64 v[56:57], v[159:160], s[14:15], v[50:51]
	v_fma_f64 v[40:41], v[159:160], s[14:15], -v[50:51]
	v_mul_f64_e32 v[50:51], s[46:47], v[66:67]
	s_delay_alu instid0(VALU_DEP_3) | instskip(SKIP_1) | instid1(VALU_DEP_4)
	v_add_f64_e32 v[34:35], v[56:57], v[34:35]
	v_mul_f64_e32 v[56:57], s[40:41], v[193:194]
	v_add_f64_e32 v[38:39], v[40:41], v[38:39]
	s_delay_alu instid0(VALU_DEP_2) | instskip(SKIP_2) | instid1(VALU_DEP_3)
	v_fma_f64 v[58:59], v[165:166], s[56:57], v[56:57]
	v_fma_f64 v[40:41], v[165:166], s[38:39], v[56:57]
	;; [unrolled: 1-line block ×3, first 2 shown]
	v_add_f64_e32 v[32:33], v[58:59], v[32:33]
	v_mul_f64_e32 v[58:59], s[38:39], v[195:196]
	s_delay_alu instid0(VALU_DEP_4) | instskip(NEXT) | instid1(VALU_DEP_2)
	v_add_f64_e32 v[36:37], v[40:41], v[36:37]
	v_fma_f64 v[235:236], v[169:170], s[40:41], v[58:59]
	v_fma_f64 v[40:41], v[169:170], s[40:41], -v[58:59]
	s_delay_alu instid0(VALU_DEP_2) | instskip(SKIP_1) | instid1(VALU_DEP_3)
	v_add_f64_e32 v[34:35], v[235:236], v[34:35]
	v_mul_f64_e32 v[235:236], s[20:21], v[205:206]
	v_add_f64_e32 v[38:39], v[40:41], v[38:39]
	s_delay_alu instid0(VALU_DEP_2) | instskip(SKIP_1) | instid1(VALU_DEP_2)
	v_fma_f64 v[237:238], v[177:178], s[18:19], v[235:236]
	v_fma_f64 v[40:41], v[177:178], s[52:53], v[235:236]
	v_add_f64_e32 v[32:33], v[237:238], v[32:33]
	v_mul_f64_e32 v[237:238], s[52:53], v[207:208]
	s_delay_alu instid0(VALU_DEP_3) | instskip(NEXT) | instid1(VALU_DEP_2)
	v_add_f64_e32 v[36:37], v[40:41], v[36:37]
	v_fma_f64 v[239:240], v[179:180], s[20:21], v[237:238]
	v_fma_f64 v[40:41], v[179:180], s[20:21], -v[237:238]
	s_delay_alu instid0(VALU_DEP_2) | instskip(SKIP_1) | instid1(VALU_DEP_3)
	v_add_f64_e32 v[34:35], v[239:240], v[34:35]
	v_mul_f64_e32 v[239:240], s[0:1], v[209:210]
	v_add_f64_e32 v[38:39], v[40:41], v[38:39]
	s_delay_alu instid0(VALU_DEP_2) | instskip(SKIP_1) | instid1(VALU_DEP_2)
	v_fma_f64 v[241:242], v[189:190], s[50:51], v[239:240]
	v_fma_f64 v[40:41], v[189:190], s[16:17], v[239:240]
	v_add_f64_e32 v[32:33], v[241:242], v[32:33]
	v_mul_f64_e32 v[241:242], s[16:17], v[211:212]
	s_delay_alu instid0(VALU_DEP_3) | instskip(NEXT) | instid1(VALU_DEP_2)
	v_add_f64_e32 v[36:37], v[40:41], v[36:37]
	v_fma_f64 v[243:244], v[191:192], s[0:1], v[241:242]
	v_fma_f64 v[40:41], v[191:192], s[0:1], -v[241:242]
	s_delay_alu instid0(VALU_DEP_2) | instskip(SKIP_1) | instid1(VALU_DEP_3)
	v_add_f64_e32 v[34:35], v[243:244], v[34:35]
	v_mul_f64_e32 v[243:244], s[30:31], v[213:214]
	v_add_f64_e32 v[38:39], v[40:41], v[38:39]
	s_delay_alu instid0(VALU_DEP_2) | instskip(SKIP_1) | instid1(VALU_DEP_2)
	v_fma_f64 v[245:246], v[201:202], s[44:45], v[243:244]
	v_fma_f64 v[40:41], v[201:202], s[28:29], v[243:244]
	v_add_f64_e32 v[32:33], v[245:246], v[32:33]
	v_mul_f64_e32 v[245:246], s[28:29], v[215:216]
	s_delay_alu instid0(VALU_DEP_3) | instskip(SKIP_2) | instid1(VALU_DEP_4)
	v_add_f64_e32 v[36:37], v[40:41], v[36:37]
	v_fma_f64 v[40:41], v[133:134], s[30:31], -v[44:45]
	v_fma_f64 v[44:45], v[133:134], s[30:31], v[44:45]
	v_fma_f64 v[42:43], v[203:204], s[30:31], -v[245:246]
	v_fma_f64 v[247:248], v[203:204], s[30:31], v[245:246]
	s_delay_alu instid0(VALU_DEP_4) | instskip(NEXT) | instid1(VALU_DEP_4)
	v_add_f64_e32 v[40:41], v[0:1], v[40:41]
	v_add_f64_e32 v[44:45], v[0:1], v[44:45]
	s_delay_alu instid0(VALU_DEP_4) | instskip(SKIP_3) | instid1(VALU_DEP_3)
	v_add_f64_e32 v[38:39], v[42:43], v[38:39]
	v_fma_f64 v[42:43], v[135:136], s[26:27], -v[46:47]
	v_fma_f64 v[46:47], v[135:136], s[26:27], v[46:47]
	v_add_f64_e32 v[34:35], v[247:248], v[34:35]
	v_add_f64_e32 v[40:41], v[42:43], v[40:41]
	v_fma_f64 v[42:43], v[141:142], s[30:31], v[48:49]
	s_delay_alu instid0(VALU_DEP_4) | instskip(SKIP_2) | instid1(VALU_DEP_4)
	v_add_f64_e32 v[44:45], v[46:47], v[44:45]
	v_fma_f64 v[46:47], v[141:142], s[30:31], -v[48:49]
	v_fma_f64 v[48:49], v[143:144], s[26:27], -v[50:51]
	v_add_f64_e32 v[42:43], v[2:3], v[42:43]
	s_delay_alu instid0(VALU_DEP_3) | instskip(NEXT) | instid1(VALU_DEP_2)
	v_add_f64_e32 v[46:47], v[2:3], v[46:47]
	v_add_f64_e32 v[42:43], v[56:57], v[42:43]
	v_mul_f64_e32 v[56:57], s[0:1], v[167:168]
	s_delay_alu instid0(VALU_DEP_3) | instskip(NEXT) | instid1(VALU_DEP_2)
	v_add_f64_e32 v[46:47], v[48:49], v[46:47]
	v_fma_f64 v[58:59], v[149:150], s[50:51], v[56:57]
	v_fma_f64 v[48:49], v[149:150], s[16:17], v[56:57]
	v_mul_f64_e32 v[56:57], s[34:35], v[60:61]
	s_delay_alu instid0(VALU_DEP_3) | instskip(SKIP_1) | instid1(VALU_DEP_4)
	v_add_f64_e32 v[40:41], v[58:59], v[40:41]
	v_mul_f64_e32 v[58:59], s[16:17], v[171:172]
	v_add_f64_e32 v[44:45], v[48:49], v[44:45]
	s_delay_alu instid0(VALU_DEP_2) | instskip(SKIP_2) | instid1(VALU_DEP_3)
	v_fma_f64 v[235:236], v[151:152], s[0:1], v[58:59]
	v_fma_f64 v[48:49], v[151:152], s[0:1], -v[58:59]
	v_mul_f64_e32 v[58:59], s[42:43], v[62:63]
	v_add_f64_e32 v[42:43], v[235:236], v[42:43]
	v_mul_f64_e32 v[235:236], s[36:37], v[181:182]
	s_delay_alu instid0(VALU_DEP_4) | instskip(NEXT) | instid1(VALU_DEP_2)
	v_add_f64_e32 v[46:47], v[48:49], v[46:47]
	v_fma_f64 v[237:238], v[157:158], s[48:49], v[235:236]
	v_fma_f64 v[48:49], v[157:158], s[34:35], v[235:236]
	v_mul_f64_e32 v[235:236], s[42:43], v[66:67]
	v_mul_f64_e32 v[66:67], s[50:51], v[66:67]
	s_delay_alu instid0(VALU_DEP_4) | instskip(SKIP_2) | instid1(VALU_DEP_2)
	v_add_f64_e32 v[40:41], v[237:238], v[40:41]
	v_mul_f64_e32 v[237:238], s[34:35], v[183:184]
	v_add_f64_e32 v[44:45], v[48:49], v[44:45]
	v_fma_f64 v[239:240], v[159:160], s[36:37], v[237:238]
	v_fma_f64 v[48:49], v[159:160], s[36:37], -v[237:238]
	v_fma_f64 v[237:238], v[143:144], s[14:15], v[235:236]
	s_delay_alu instid0(VALU_DEP_3) | instskip(SKIP_1) | instid1(VALU_DEP_4)
	v_add_f64_e32 v[42:43], v[239:240], v[42:43]
	v_mul_f64_e32 v[239:240], s[20:21], v[193:194]
	v_add_f64_e32 v[46:47], v[48:49], v[46:47]
	s_delay_alu instid0(VALU_DEP_2) | instskip(SKIP_1) | instid1(VALU_DEP_2)
	v_fma_f64 v[241:242], v[165:166], s[18:19], v[239:240]
	v_fma_f64 v[48:49], v[165:166], s[52:53], v[239:240]
	v_add_f64_e32 v[40:41], v[241:242], v[40:41]
	v_mul_f64_e32 v[241:242], s[52:53], v[195:196]
	s_delay_alu instid0(VALU_DEP_3) | instskip(NEXT) | instid1(VALU_DEP_2)
	v_add_f64_e32 v[44:45], v[48:49], v[44:45]
	v_fma_f64 v[243:244], v[169:170], s[20:21], v[241:242]
	v_fma_f64 v[48:49], v[169:170], s[20:21], -v[241:242]
	s_delay_alu instid0(VALU_DEP_2) | instskip(SKIP_1) | instid1(VALU_DEP_3)
	v_add_f64_e32 v[42:43], v[243:244], v[42:43]
	v_mul_f64_e32 v[243:244], s[6:7], v[205:206]
	v_add_f64_e32 v[46:47], v[48:49], v[46:47]
	s_delay_alu instid0(VALU_DEP_2) | instskip(SKIP_1) | instid1(VALU_DEP_2)
	v_fma_f64 v[245:246], v[177:178], s[54:55], v[243:244]
	v_fma_f64 v[48:49], v[177:178], s[22:23], v[243:244]
	v_add_f64_e32 v[40:41], v[245:246], v[40:41]
	v_mul_f64_e32 v[245:246], s[22:23], v[207:208]
	s_delay_alu instid0(VALU_DEP_3) | instskip(NEXT) | instid1(VALU_DEP_2)
	v_add_f64_e32 v[44:45], v[48:49], v[44:45]
	v_fma_f64 v[247:248], v[179:180], s[6:7], v[245:246]
	v_fma_f64 v[48:49], v[179:180], s[6:7], -v[245:246]
	s_delay_alu instid0(VALU_DEP_2) | instskip(SKIP_1) | instid1(VALU_DEP_3)
	;; [unrolled: 13-line block ×3, first 2 shown]
	v_add_f64_e32 v[42:43], v[251:252], v[42:43]
	v_mul_f64_e32 v[251:252], s[14:15], v[213:214]
	v_add_f64_e32 v[46:47], v[48:49], v[46:47]
	s_delay_alu instid0(VALU_DEP_2) | instskip(SKIP_1) | instid1(VALU_DEP_2)
	v_fma_f64 v[253:254], v[201:202], s[10:11], v[251:252]
	v_fma_f64 v[48:49], v[201:202], s[42:43], v[251:252]
	v_add_f64_e32 v[40:41], v[253:254], v[40:41]
	v_mul_f64_e32 v[253:254], s[42:43], v[215:216]
	s_delay_alu instid0(VALU_DEP_3) | instskip(SKIP_2) | instid1(VALU_DEP_4)
	v_add_f64_e32 v[44:45], v[48:49], v[44:45]
	v_fma_f64 v[48:49], v[133:134], s[36:37], -v[56:57]
	v_fma_f64 v[56:57], v[133:134], s[36:37], v[56:57]
	v_fma_f64 v[219:220], v[203:204], s[14:15], v[253:254]
	v_fma_f64 v[50:51], v[203:204], s[14:15], -v[253:254]
	s_delay_alu instid0(VALU_DEP_4) | instskip(NEXT) | instid1(VALU_DEP_4)
	v_add_f64_e32 v[48:49], v[0:1], v[48:49]
	v_add_f64_e32 v[56:57], v[0:1], v[56:57]
	s_delay_alu instid0(VALU_DEP_4) | instskip(NEXT) | instid1(VALU_DEP_4)
	v_add_f64_e32 v[42:43], v[219:220], v[42:43]
	v_add_f64_e32 v[46:47], v[50:51], v[46:47]
	v_fma_f64 v[50:51], v[135:136], s[14:15], -v[58:59]
	v_mul_f64_e32 v[219:220], s[34:35], v[64:65]
	v_fma_f64 v[58:59], v[135:136], s[14:15], v[58:59]
	v_mul_f64_e32 v[64:65], s[38:39], v[64:65]
	s_delay_alu instid0(VALU_DEP_4) | instskip(NEXT) | instid1(VALU_DEP_4)
	v_add_f64_e32 v[48:49], v[50:51], v[48:49]
	v_fma_f64 v[50:51], v[141:142], s[36:37], v[219:220]
	s_delay_alu instid0(VALU_DEP_4) | instskip(SKIP_2) | instid1(VALU_DEP_4)
	v_add_f64_e32 v[56:57], v[58:59], v[56:57]
	v_fma_f64 v[58:59], v[141:142], s[36:37], -v[219:220]
	v_fma_f64 v[219:220], v[143:144], s[14:15], -v[235:236]
	v_add_f64_e32 v[50:51], v[2:3], v[50:51]
	s_delay_alu instid0(VALU_DEP_3) | instskip(NEXT) | instid1(VALU_DEP_2)
	v_add_f64_e32 v[58:59], v[2:3], v[58:59]
	v_add_f64_e32 v[50:51], v[237:238], v[50:51]
	v_mul_f64_e32 v[237:238], s[20:21], v[167:168]
	s_delay_alu instid0(VALU_DEP_3) | instskip(SKIP_1) | instid1(VALU_DEP_3)
	v_add_f64_e32 v[58:59], v[219:220], v[58:59]
	v_mul_f64_e32 v[167:168], s[36:37], v[167:168]
	v_fma_f64 v[239:240], v[149:150], s[52:53], v[237:238]
	v_fma_f64 v[219:220], v[149:150], s[18:19], v[237:238]
	s_delay_alu instid0(VALU_DEP_2) | instskip(SKIP_1) | instid1(VALU_DEP_3)
	v_add_f64_e32 v[48:49], v[239:240], v[48:49]
	v_mul_f64_e32 v[239:240], s[18:19], v[171:172]
	v_add_f64_e32 v[56:57], v[219:220], v[56:57]
	v_mul_f64_e32 v[171:172], s[34:35], v[171:172]
	s_delay_alu instid0(VALU_DEP_3) | instskip(SKIP_1) | instid1(VALU_DEP_2)
	v_fma_f64 v[241:242], v[151:152], s[20:21], v[239:240]
	v_fma_f64 v[219:220], v[151:152], s[20:21], -v[239:240]
	v_add_f64_e32 v[50:51], v[241:242], v[50:51]
	v_mul_f64_e32 v[241:242], s[30:31], v[181:182]
	s_delay_alu instid0(VALU_DEP_3) | instskip(SKIP_1) | instid1(VALU_DEP_3)
	v_add_f64_e32 v[58:59], v[219:220], v[58:59]
	v_mul_f64_e32 v[181:182], s[6:7], v[181:182]
	v_fma_f64 v[243:244], v[157:158], s[28:29], v[241:242]
	v_fma_f64 v[219:220], v[157:158], s[44:45], v[241:242]
	s_delay_alu instid0(VALU_DEP_2) | instskip(SKIP_1) | instid1(VALU_DEP_3)
	v_add_f64_e32 v[48:49], v[243:244], v[48:49]
	v_mul_f64_e32 v[243:244], s[44:45], v[183:184]
	v_add_f64_e32 v[56:57], v[219:220], v[56:57]
	v_mul_f64_e32 v[183:184], s[54:55], v[183:184]
	s_delay_alu instid0(VALU_DEP_3) | instskip(SKIP_1) | instid1(VALU_DEP_2)
	v_fma_f64 v[245:246], v[159:160], s[30:31], v[243:244]
	v_fma_f64 v[219:220], v[159:160], s[30:31], -v[243:244]
	;; [unrolled: 15-line block ×5, first 2 shown]
	v_add_f64_e32 v[50:51], v[223:224], v[50:51]
	v_mul_f64_e32 v[223:224], s[26:27], v[213:214]
	s_delay_alu instid0(VALU_DEP_3) | instskip(SKIP_1) | instid1(VALU_DEP_3)
	v_add_f64_e32 v[58:59], v[219:220], v[58:59]
	v_mul_f64_e32 v[213:214], s[20:21], v[213:214]
	v_fma_f64 v[225:226], v[201:202], s[46:47], v[223:224]
	v_fma_f64 v[219:220], v[201:202], s[24:25], v[223:224]
	;; [unrolled: 1-line block ×3, first 2 shown]
	v_fma_f64 v[66:67], v[143:144], s[0:1], -v[66:67]
	s_delay_alu instid0(VALU_DEP_4) | instskip(SKIP_4) | instid1(VALU_DEP_4)
	v_add_f64_e32 v[48:49], v[225:226], v[48:49]
	v_mul_f64_e32 v[225:226], s[24:25], v[215:216]
	v_add_f64_e32 v[56:57], v[219:220], v[56:57]
	v_mul_f64_e32 v[219:220], s[38:39], v[60:61]
	v_mul_f64_e32 v[215:216], s[52:53], v[215:216]
	v_fma_f64 v[221:222], v[203:204], s[26:27], -v[225:226]
	v_fma_f64 v[227:228], v[203:204], s[26:27], v[225:226]
	s_delay_alu instid0(VALU_DEP_4) | instskip(SKIP_1) | instid1(VALU_DEP_4)
	v_fma_f64 v[60:61], v[133:134], s[40:41], -v[219:220]
	v_fma_f64 v[219:220], v[133:134], s[40:41], v[219:220]
	v_add_f64_e32 v[58:59], v[221:222], v[58:59]
	v_mul_f64_e32 v[221:222], s[50:51], v[62:63]
	s_delay_alu instid0(VALU_DEP_4) | instskip(NEXT) | instid1(VALU_DEP_4)
	v_add_f64_e32 v[60:61], v[0:1], v[60:61]
	v_add_f64_e32 v[219:220], v[0:1], v[219:220]
	;; [unrolled: 1-line block ×3, first 2 shown]
	s_delay_alu instid0(VALU_DEP_4) | instskip(SKIP_1) | instid1(VALU_DEP_2)
	v_fma_f64 v[62:63], v[135:136], s[0:1], -v[221:222]
	v_fma_f64 v[221:222], v[135:136], s[0:1], v[221:222]
	v_add_f64_e32 v[60:61], v[62:63], v[60:61]
	v_fma_f64 v[62:63], v[141:142], s[40:41], v[64:65]
	v_fma_f64 v[64:65], v[141:142], s[40:41], -v[64:65]
	s_delay_alu instid0(VALU_DEP_4) | instskip(NEXT) | instid1(VALU_DEP_3)
	v_add_f64_e32 v[219:220], v[221:222], v[219:220]
	v_add_f64_e32 v[62:63], v[2:3], v[62:63]
	s_delay_alu instid0(VALU_DEP_3) | instskip(NEXT) | instid1(VALU_DEP_2)
	v_add_f64_e32 v[64:65], v[2:3], v[64:65]
	v_add_f64_e32 v[62:63], v[223:224], v[62:63]
	v_fma_f64 v[223:224], v[149:150], s[48:49], v[167:168]
	s_delay_alu instid0(VALU_DEP_3) | instskip(SKIP_2) | instid1(VALU_DEP_4)
	v_add_f64_e32 v[64:65], v[66:67], v[64:65]
	v_fma_f64 v[66:67], v[149:150], s[34:35], v[167:168]
	v_fma_f64 v[167:168], v[151:152], s[36:37], -v[171:172]
	v_add_f64_e32 v[60:61], v[223:224], v[60:61]
	v_fma_f64 v[223:224], v[151:152], s[36:37], v[171:172]
	s_delay_alu instid0(VALU_DEP_4) | instskip(NEXT) | instid1(VALU_DEP_4)
	v_add_f64_e32 v[66:67], v[66:67], v[219:220]
	v_add_f64_e32 v[64:65], v[167:168], v[64:65]
	v_fma_f64 v[167:168], v[157:158], s[54:55], v[181:182]
	v_fma_f64 v[171:172], v[203:204], s[20:21], -v[215:216]
	v_add_f64_e32 v[62:63], v[223:224], v[62:63]
	v_fma_f64 v[223:224], v[157:158], s[22:23], v[181:182]
	s_delay_alu instid0(VALU_DEP_4) | instskip(SKIP_1) | instid1(VALU_DEP_3)
	v_add_f64_e32 v[66:67], v[167:168], v[66:67]
	v_fma_f64 v[167:168], v[159:160], s[6:7], -v[183:184]
	v_add_f64_e32 v[60:61], v[223:224], v[60:61]
	v_fma_f64 v[223:224], v[159:160], s[6:7], v[183:184]
	s_delay_alu instid0(VALU_DEP_3) | instskip(SKIP_1) | instid1(VALU_DEP_3)
	v_add_f64_e32 v[64:65], v[167:168], v[64:65]
	v_fma_f64 v[167:168], v[165:166], s[28:29], v[193:194]
	v_add_f64_e32 v[62:63], v[223:224], v[62:63]
	v_fma_f64 v[223:224], v[165:166], s[44:45], v[193:194]
	s_delay_alu instid0(VALU_DEP_3) | instskip(SKIP_1) | instid1(VALU_DEP_3)
	v_add_f64_e32 v[66:67], v[167:168], v[66:67]
	v_fma_f64 v[167:168], v[169:170], s[30:31], -v[195:196]
	v_add_f64_e32 v[60:61], v[223:224], v[60:61]
	v_fma_f64 v[223:224], v[169:170], s[30:31], v[195:196]
	s_delay_alu instid0(VALU_DEP_3) | instskip(SKIP_1) | instid1(VALU_DEP_3)
	v_add_f64_e32 v[64:65], v[167:168], v[64:65]
	v_fma_f64 v[167:168], v[177:178], s[42:43], v[205:206]
	v_add_f64_e32 v[62:63], v[223:224], v[62:63]
	v_fma_f64 v[223:224], v[177:178], s[10:11], v[205:206]
	s_delay_alu instid0(VALU_DEP_3) | instskip(SKIP_1) | instid1(VALU_DEP_3)
	;; [unrolled: 10-line block ×3, first 2 shown]
	v_add_f64_e32 v[66:67], v[167:168], v[66:67]
	v_fma_f64 v[167:168], v[191:192], s[26:27], -v[211:212]
	v_add_f64_e32 v[60:61], v[223:224], v[60:61]
	v_fma_f64 v[223:224], v[191:192], s[26:27], v[211:212]
	s_delay_alu instid0(VALU_DEP_3) | instskip(SKIP_1) | instid1(VALU_DEP_3)
	v_add_f64_e32 v[167:168], v[167:168], v[64:65]
	v_fma_f64 v[64:65], v[201:202], s[52:53], v[213:214]
	v_add_f64_e32 v[62:63], v[223:224], v[62:63]
	v_fma_f64 v[223:224], v[201:202], s[18:19], v[213:214]
	s_delay_alu instid0(VALU_DEP_3) | instskip(SKIP_2) | instid1(VALU_DEP_4)
	v_add_f64_e32 v[64:65], v[64:65], v[66:67]
	v_add_f64_e32 v[66:67], v[171:172], v[167:168]
	v_mul_lo_u16 v167, v217, 17
	v_add_f64_e32 v[60:61], v[223:224], v[60:61]
	v_fma_f64 v[223:224], v[203:204], s[20:21], v[215:216]
	s_delay_alu instid0(VALU_DEP_1)
	v_add_f64_e32 v[62:63], v[223:224], v[62:63]
	s_and_saveexec_b32 s16, vcc_lo
	s_cbranch_execz .LBB0_7
; %bb.6:
	v_add_f64_e32 v[70:71], v[70:71], v[2:3]
	v_add_f64_e32 v[68:69], v[68:69], v[0:1]
	s_delay_alu instid0(VALU_DEP_2) | instskip(NEXT) | instid1(VALU_DEP_2)
	v_add_f64_e32 v[54:55], v[54:55], v[70:71]
	v_add_f64_e32 v[52:53], v[52:53], v[68:69]
	v_mul_f64_e32 v[70:71], s[0:1], v[133:134]
	v_mul_f64_e32 v[68:69], s[0:1], v[141:142]
	s_delay_alu instid0(VALU_DEP_4) | instskip(NEXT) | instid1(VALU_DEP_4)
	v_add_f64_e32 v[54:55], v[74:75], v[54:55]
	v_add_f64_e32 v[52:53], v[72:73], v[52:53]
	v_mul_f64_e32 v[74:75], s[6:7], v[135:136]
	v_add_f64_e64 v[70:71], v[70:71], -v[129:130]
	v_mul_f64_e32 v[72:73], s[6:7], v[143:144]
	v_add_f64_e32 v[68:69], v[139:140], v[68:69]
	v_add_f64_e32 v[54:55], v[78:79], v[54:55]
	;; [unrolled: 1-line block ×3, first 2 shown]
	v_mul_f64_e32 v[76:77], s[10:11], v[149:150]
	v_add_f64_e64 v[74:75], v[74:75], -v[131:132]
	v_add_f64_e32 v[0:1], v[0:1], v[70:71]
	v_add_f64_e32 v[72:73], v[137:138], v[72:73]
	;; [unrolled: 1-line block ×3, first 2 shown]
	v_mul_f64_e32 v[68:69], s[18:19], v[157:158]
	v_mul_f64_e32 v[78:79], s[14:15], v[151:152]
	;; [unrolled: 1-line block ×3, first 2 shown]
	v_add_f64_e32 v[54:55], v[82:83], v[54:55]
	v_add_f64_e32 v[52:53], v[80:81], v[52:53]
	v_add_f64_e64 v[76:77], v[145:146], -v[76:77]
	v_add_f64_e32 v[0:1], v[74:75], v[0:1]
	v_mul_f64_e32 v[74:75], s[26:27], v[169:170]
	v_add_f64_e32 v[2:3], v[72:73], v[2:3]
	v_mul_f64_e32 v[72:73], s[24:25], v[165:166]
	v_add_f64_e64 v[68:69], v[153:154], -v[68:69]
	v_add_f64_e32 v[78:79], v[78:79], v[147:148]
	v_add_f64_e32 v[70:71], v[70:71], v[155:156]
	;; [unrolled: 1-line block ×5, first 2 shown]
	v_mul_f64_e32 v[76:77], s[28:29], v[177:178]
	v_add_f64_e32 v[74:75], v[74:75], v[163:164]
	v_add_f64_e64 v[72:73], v[161:162], -v[72:73]
	v_add_f64_e32 v[2:3], v[78:79], v[2:3]
	v_mul_f64_e32 v[78:79], s[30:31], v[179:180]
	v_add_f64_e32 v[54:55], v[90:91], v[54:55]
	v_add_f64_e32 v[52:53], v[88:89], v[52:53]
	;; [unrolled: 1-line block ×3, first 2 shown]
	v_mul_f64_e32 v[68:69], s[34:35], v[189:190]
	v_add_f64_e64 v[76:77], v[173:174], -v[76:77]
	v_add_f64_e32 v[2:3], v[70:71], v[2:3]
	v_mul_f64_e32 v[70:71], s[36:37], v[191:192]
	v_add_f64_e32 v[78:79], v[78:79], v[175:176]
	v_add_f64_e32 v[54:55], v[94:95], v[54:55]
	;; [unrolled: 1-line block ×4, first 2 shown]
	v_add_f64_e64 v[68:69], v[185:186], -v[68:69]
	v_mul_f64_e32 v[72:73], s[38:39], v[201:202]
	v_add_f64_e32 v[2:3], v[74:75], v[2:3]
	v_mul_f64_e32 v[74:75], s[40:41], v[203:204]
	v_add_f64_e32 v[70:71], v[70:71], v[187:188]
	v_add_f64_e32 v[54:55], v[98:99], v[54:55]
	v_add_f64_e32 v[52:53], v[96:97], v[52:53]
	v_add_f64_e32 v[0:1], v[76:77], v[0:1]
	v_add_f64_e64 v[72:73], v[197:198], -v[72:73]
	v_add_f64_e32 v[2:3], v[78:79], v[2:3]
	v_add_f64_e32 v[74:75], v[74:75], v[199:200]
	;; [unrolled: 1-line block ×5, first 2 shown]
	scratch_load_b32 v69, off, off          ; 4-byte Folded Reload
	v_and_b32_e32 v68, 0xffff, v167
	v_add_f64_e32 v[2:3], v[70:71], v[2:3]
	v_add_f64_e32 v[54:55], v[106:107], v[54:55]
	;; [unrolled: 1-line block ×4, first 2 shown]
	s_delay_alu instid0(VALU_DEP_4) | instskip(NEXT) | instid1(VALU_DEP_4)
	v_add_f64_e32 v[2:3], v[74:75], v[2:3]
	v_add_f64_e32 v[54:55], v[110:111], v[54:55]
	s_delay_alu instid0(VALU_DEP_4) | instskip(NEXT) | instid1(VALU_DEP_2)
	v_add_f64_e32 v[52:53], v[108:109], v[52:53]
	v_add_f64_e32 v[54:55], v[114:115], v[54:55]
	s_delay_alu instid0(VALU_DEP_2) | instskip(NEXT) | instid1(VALU_DEP_2)
	v_add_f64_e32 v[52:53], v[112:113], v[52:53]
	v_add_f64_e32 v[54:55], v[118:119], v[54:55]
	s_delay_alu instid0(VALU_DEP_2) | instskip(NEXT) | instid1(VALU_DEP_2)
	;; [unrolled: 3-line block ×3, first 2 shown]
	v_add_f64_e32 v[52:53], v[120:121], v[52:53]
	v_add_f64_e32 v[54:55], v[126:127], v[54:55]
	s_delay_alu instid0(VALU_DEP_2)
	v_add_f64_e32 v[52:53], v[124:125], v[52:53]
	s_wait_loadcnt 0x0
	v_add_lshl_u32 v68, v69, v68, 4
	ds_store_b128 v68, v[4:7] offset:32
	ds_store_b128 v68, v[12:15] offset:48
	ds_store_b128 v68, v[24:27] offset:64
	ds_store_b128 v68, v[32:35] offset:80
	ds_store_b128 v68, v[40:43] offset:96
	ds_store_b128 v68, v[48:51] offset:112
	ds_store_b128 v68, v[60:63] offset:128
	ds_store_b128 v68, v[64:67] offset:144
	ds_store_b128 v68, v[56:59] offset:160
	ds_store_b128 v68, v[44:47] offset:176
	ds_store_b128 v68, v[36:39] offset:192
	ds_store_b128 v68, v[28:31] offset:208
	ds_store_b128 v68, v[20:23] offset:224
	ds_store_b128 v68, v[16:19] offset:240
	ds_store_b128 v68, v[52:55]
	ds_store_b128 v68, v[0:3] offset:16
	ds_store_b128 v68, v[8:11] offset:256
.LBB0_7:
	s_wait_alu 0xfffe
	s_or_b32 exec_lo, exec_lo, s16
	s_load_b128 s[0:3], s[2:3], 0x0
	global_wb scope:SCOPE_SE
	s_wait_dscnt 0x0
	s_wait_kmcnt 0x0
	s_barrier_signal -1
	s_barrier_wait -1
	global_inv scope:SCOPE_SE
	global_load_b128 v[251:254], v218, s[4:5]
	scratch_load_b32 v72, off, off          ; 4-byte Folded Reload
	scratch_store_b32 off, v255, off offset:40 ; 4-byte Folded Spill
	v_lshl_add_u32 v255, v217, 4, v255
	s_wait_loadcnt 0x0
	v_add_lshl_u32 v84, v72, v217, 4
	ds_load_b128 v[52:55], v84 offset:272
	s_wait_dscnt 0x0
	v_mul_f64_e32 v[68:69], v[54:55], v[253:254]
	v_mul_f64_e32 v[70:71], v[52:53], v[253:254]
	s_delay_alu instid0(VALU_DEP_2) | instskip(NEXT) | instid1(VALU_DEP_2)
	v_fma_f64 v[68:69], v[52:53], v[251:252], -v[68:69]
	v_fma_f64 v[70:71], v[54:55], v[251:252], v[70:71]
	ds_load_b128 v[52:55], v84
	s_wait_dscnt 0x0
	v_add_f64_e64 v[68:69], v[52:53], -v[68:69]
	v_add_f64_e64 v[70:71], v[54:55], -v[70:71]
	s_delay_alu instid0(VALU_DEP_2) | instskip(NEXT) | instid1(VALU_DEP_2)
	v_fma_f64 v[52:53], v[52:53], 2.0, -v[68:69]
	v_fma_f64 v[54:55], v[54:55], 2.0, -v[70:71]
	ds_store_b128 v255, v[52:55]
	ds_store_b128 v255, v[68:71] offset:272
	global_wb scope:SCOPE_SE
	s_wait_storecnt_dscnt 0x0
	s_barrier_signal -1
	s_barrier_wait -1
	global_inv scope:SCOPE_SE
	s_and_saveexec_b32 s6, vcc_lo
	s_cbranch_execz .LBB0_9
; %bb.8:
	s_add_nc_u64 s[4:5], s[8:9], 0x220
	s_clause 0x10
	global_load_b128 v[76:79], v218, s[8:9] offset:544
	global_load_b128 v[72:75], v218, s[4:5] offset:32
	;; [unrolled: 1-line block ×17, first 2 shown]
	scratch_load_b32 v0, off, off offset:4  ; 4-byte Folded Reload
	s_wait_loadcnt 0x0
	ds_load_b128 v[145:148], v0
	s_wait_dscnt 0x0
	v_mul_f64_e32 v[126:127], v[147:148], v[78:79]
	v_mul_f64_e32 v[78:79], v[145:146], v[78:79]
	s_delay_alu instid0(VALU_DEP_2) | instskip(NEXT) | instid1(VALU_DEP_2)
	v_fma_f64 v[145:146], v[145:146], v[76:77], -v[126:127]
	v_fma_f64 v[147:148], v[147:148], v[76:77], v[78:79]
	ds_store_b128 v0, v[145:148]
	ds_load_b128 v[76:79], v255 offset:32
	ds_load_b128 v[145:148], v255 offset:64
	;; [unrolled: 1-line block ×16, first 2 shown]
	s_wait_dscnt 0xf
	v_mul_f64_e32 v[126:127], v[78:79], v[74:75]
	v_mul_f64_e32 v[165:166], v[76:77], v[74:75]
	s_wait_dscnt 0xe
	v_mul_f64_e32 v[208:209], v[147:148], v[82:83]
	v_mul_f64_e32 v[82:83], v[145:146], v[82:83]
	;; [unrolled: 3-line block ×16, first 2 shown]
	v_fma_f64 v[74:75], v[76:77], v[72:73], -v[126:127]
	v_fma_f64 v[76:77], v[78:79], v[72:73], v[165:166]
	scratch_load_b32 v72, off, off          ; 4-byte Folded Reload
	v_fma_f64 v[78:79], v[145:146], v[80:81], -v[208:209]
	v_fma_f64 v[80:81], v[147:148], v[80:81], v[82:83]
	v_fma_f64 v[124:125], v[149:150], v[86:87], -v[210:211]
	v_fma_f64 v[126:127], v[151:152], v[86:87], v[88:89]
	;; [unrolled: 2-line block ×15, first 2 shown]
	ds_store_b128 v255, v[74:77] offset:32
	ds_store_b128 v255, v[78:81] offset:64
	;; [unrolled: 1-line block ×16, first 2 shown]
.LBB0_9:
	s_wait_alu 0xfffe
	s_or_b32 exec_lo, exec_lo, s6
	global_wb scope:SCOPE_SE
	s_wait_loadcnt_dscnt 0x0
	s_barrier_signal -1
	s_barrier_wait -1
	global_inv scope:SCOPE_SE
	s_and_saveexec_b32 s4, vcc_lo
	s_cbranch_execz .LBB0_11
; %bb.10:
	scratch_load_b32 v0, off, off offset:4  ; 4-byte Folded Reload
	s_wait_loadcnt 0x0
	ds_load_b128 v[52:55], v0
	ds_load_b128 v[68:71], v255 offset:32
	ds_load_b128 v[4:7], v255 offset:64
	;; [unrolled: 1-line block ×16, first 2 shown]
.LBB0_11:
	s_wait_alu 0xfffe
	s_or_b32 exec_lo, exec_lo, s4
	global_wb scope:SCOPE_SE
	s_wait_dscnt 0x0
	s_barrier_signal -1
	s_barrier_wait -1
	global_inv scope:SCOPE_SE
	s_and_saveexec_b32 s33, vcc_lo
	s_cbranch_execz .LBB0_13
; %bb.12:
	v_add_f64_e32 v[72:73], v[70:71], v[54:55]
	v_add_f64_e32 v[74:75], v[68:69], v[52:53]
	;; [unrolled: 1-line block ×3, first 2 shown]
	s_mov_b32 s44, 0x6c9a05f6
	s_mov_b32 s45, 0xbfe9895b
	s_mov_b32 s18, 0x6ed5f1bb
	s_mov_b32 s19, 0xbfe348c8
	s_mov_b32 s14, 0x923c349f
	s_mov_b32 s15, 0xbfeec746
	s_mov_b32 s4, 0xeb564b22
	s_mov_b32 s22, 0xc61f0d01
	s_mov_b32 s5, 0x3fefdd0d
	s_mov_b32 s49, 0xbfefdd0d
	s_wait_alu 0xfffe
	s_mov_b32 s48, s4
	s_mov_b32 s23, 0xbfd183b1
	;; [unrolled: 1-line block ×6, first 2 shown]
	s_wait_alu 0xfffe
	s_mov_b32 s40, s54
	s_mov_b32 s27, 0x3fb79ee6
	;; [unrolled: 1-line block ×14, first 2 shown]
	s_wait_alu 0xfffe
	s_mov_b32 s24, s6
	s_mov_b32 s20, s38
	s_mov_b32 s30, 0x2b2883cd
	s_mov_b32 s16, 0x910ea3b9
	s_mov_b32 s10, 0x7faef3
	v_add_f64_e32 v[72:73], v[6:7], v[72:73]
	v_add_f64_e32 v[74:75], v[4:5], v[74:75]
	s_mov_b32 s36, 0x370991
	s_mov_b32 s31, 0x3fdc86fa
	;; [unrolled: 1-line block ×11, first 2 shown]
	v_mul_f64_e32 v[159:160], s[26:27], v[76:77]
	s_mov_b32 s56, s42
	s_wait_alu 0xfffe
	v_mul_f64_e32 v[163:164], s[30:31], v[76:77]
	v_mul_f64_e32 v[192:193], s[10:11], v[76:77]
	;; [unrolled: 1-line block ×3, first 2 shown]
	v_add_f64_e32 v[72:73], v[14:15], v[72:73]
	v_add_f64_e32 v[74:75], v[12:13], v[74:75]
	s_delay_alu instid0(VALU_DEP_2) | instskip(NEXT) | instid1(VALU_DEP_2)
	v_add_f64_e32 v[72:73], v[26:27], v[72:73]
	v_add_f64_e32 v[74:75], v[24:25], v[74:75]
	s_delay_alu instid0(VALU_DEP_2) | instskip(NEXT) | instid1(VALU_DEP_2)
	v_add_f64_e32 v[72:73], v[34:35], v[72:73]
	v_add_f64_e32 v[74:75], v[32:33], v[74:75]
	s_delay_alu instid0(VALU_DEP_2) | instskip(NEXT) | instid1(VALU_DEP_2)
	v_add_f64_e32 v[72:73], v[42:43], v[72:73]
	v_add_f64_e32 v[74:75], v[40:41], v[74:75]
	s_delay_alu instid0(VALU_DEP_2) | instskip(NEXT) | instid1(VALU_DEP_2)
	v_add_f64_e32 v[72:73], v[50:51], v[72:73]
	v_add_f64_e32 v[74:75], v[48:49], v[74:75]
	s_delay_alu instid0(VALU_DEP_2) | instskip(NEXT) | instid1(VALU_DEP_2)
	v_add_f64_e32 v[78:79], v[62:63], v[72:73]
	v_add_f64_e32 v[80:81], v[60:61], v[74:75]
	v_add_f64_e64 v[74:75], v[60:61], -v[64:65]
	v_add_f64_e32 v[72:73], v[66:67], v[62:63]
	v_add_f64_e64 v[60:61], v[62:63], -v[66:67]
	v_add_f64_e32 v[62:63], v[58:59], v[50:51]
	v_add_f64_e32 v[78:79], v[66:67], v[78:79]
	;; [unrolled: 1-line block ×3, first 2 shown]
	v_add_f64_e64 v[66:67], v[48:49], -v[56:57]
	v_add_f64_e32 v[64:65], v[56:57], v[48:49]
	v_add_f64_e64 v[48:49], v[50:51], -v[58:59]
	v_add_f64_e32 v[50:51], v[46:47], v[42:43]
	v_mul_f64_e32 v[157:158], s[4:5], v[74:75]
	v_mul_f64_e32 v[161:162], s[6:7], v[74:75]
	;; [unrolled: 1-line block ×4, first 2 shown]
	v_add_f64_e32 v[78:79], v[58:59], v[78:79]
	v_add_f64_e32 v[80:81], v[56:57], v[80:81]
	v_add_f64_e64 v[58:59], v[40:41], -v[44:45]
	v_add_f64_e32 v[56:57], v[44:45], v[40:41]
	v_add_f64_e64 v[40:41], v[42:43], -v[46:47]
	v_add_f64_e32 v[42:43], v[38:39], v[34:35]
	v_mul_f64_e32 v[186:187], s[28:29], v[66:67]
	v_mul_f64_e32 v[188:189], s[16:17], v[64:65]
	;; [unrolled: 1-line block ×5, first 2 shown]
	v_add_f64_e32 v[78:79], v[46:47], v[78:79]
	v_add_f64_e32 v[80:81], v[44:45], v[80:81]
	v_add_f64_e64 v[46:47], v[32:33], -v[36:37]
	v_add_f64_e32 v[44:45], v[36:37], v[32:33]
	v_add_f64_e64 v[32:33], v[34:35], -v[38:39]
	v_add_f64_e32 v[34:35], v[30:31], v[26:27]
	v_mul_f64_e32 v[182:183], s[44:45], v[58:59]
	v_mul_f64_e32 v[184:185], s[18:19], v[56:57]
	;; [unrolled: 1-line block ×6, first 2 shown]
	v_add_f64_e32 v[78:79], v[38:39], v[78:79]
	v_add_f64_e32 v[80:81], v[36:37], v[80:81]
	v_add_f64_e64 v[38:39], v[24:25], -v[28:29]
	v_add_f64_e32 v[36:37], v[28:29], v[24:25]
	v_add_f64_e64 v[24:25], v[26:27], -v[30:31]
	v_add_f64_e32 v[26:27], v[22:23], v[14:15]
	v_mul_f64_e32 v[178:179], s[14:15], v[46:47]
	v_mul_f64_e32 v[180:181], s[22:23], v[44:45]
	;; [unrolled: 1-line block ×6, first 2 shown]
	v_add_f64_e32 v[82:83], v[30:31], v[78:79]
	v_add_f64_e32 v[80:81], v[28:29], v[80:81]
	v_add_f64_e64 v[78:79], v[12:13], -v[20:21]
	v_add_f64_e32 v[30:31], v[20:21], v[12:13]
	v_add_f64_e64 v[28:29], v[14:15], -v[22:23]
	v_mul_f64_e32 v[174:175], s[48:49], v[38:39]
	v_mul_f64_e32 v[176:177], s[26:27], v[36:37]
	;; [unrolled: 1-line block ×6, first 2 shown]
	v_add_f64_e32 v[12:13], v[22:23], v[82:83]
	v_add_f64_e32 v[14:15], v[20:21], v[80:81]
	v_add_f64_e64 v[82:83], v[4:5], -v[16:17]
	v_add_f64_e32 v[22:23], v[4:5], v[16:17]
	v_add_f64_e64 v[80:81], v[6:7], -v[18:19]
	v_add_f64_e32 v[20:21], v[6:7], v[18:19]
	v_mul_f64_e32 v[170:171], s[24:25], v[78:79]
	v_mul_f64_e32 v[172:173], s[30:31], v[30:31]
	;; [unrolled: 1-line block ×6, first 2 shown]
	v_add_f64_e32 v[4:5], v[18:19], v[12:13]
	v_add_f64_e32 v[12:13], v[16:17], v[14:15]
	v_add_f64_e64 v[14:15], v[68:69], -v[8:9]
	v_add_f64_e64 v[16:17], v[70:71], -v[10:11]
	v_add_f64_e32 v[18:19], v[70:71], v[10:11]
	v_add_f64_e32 v[68:69], v[68:69], v[8:9]
	v_mul_f64_e32 v[165:166], s[40:41], v[82:83]
	v_mul_f64_e32 v[168:169], s[40:41], v[80:81]
	;; [unrolled: 1-line block ×6, first 2 shown]
	v_add_f64_e32 v[2:3], v[10:11], v[4:5]
	v_add_f64_e32 v[0:1], v[8:9], v[12:13]
	v_mul_f64_e32 v[12:13], s[44:45], v[14:15]
	v_mul_f64_e32 v[110:111], s[44:45], v[16:17]
	;; [unrolled: 1-line block ×15, first 2 shown]
	scratch_store_b128 off, v[0:3], off offset:44 ; 16-byte Folded Spill
	v_fma_f64 v[96:97], v[18:19], s[18:19], v[12:13]
	v_fma_f64 v[12:13], v[18:19], s[18:19], -v[12:13]
	v_fma_f64 v[124:125], v[68:69], s[18:19], -v[110:111]
	v_fma_f64 v[110:111], v[68:69], s[18:19], v[110:111]
	v_fma_f64 v[98:99], v[18:19], s[22:23], v[70:71]
	;; [unrolled: 1-line block ×3, first 2 shown]
	v_fma_f64 v[104:105], v[18:19], s[34:35], -v[90:91]
	v_fma_f64 v[90:91], v[18:19], s[34:35], v[90:91]
	v_fma_f64 v[133:134], v[68:69], s[34:35], v[118:119]
	v_fma_f64 v[118:119], v[68:69], s[34:35], -v[118:119]
	v_fma_f64 v[92:93], v[18:19], s[10:11], v[8:9]
	v_fma_f64 v[8:9], v[18:19], s[10:11], -v[8:9]
	;; [unrolled: 2-line block ×3, first 2 shown]
	v_fma_f64 v[70:71], v[18:19], s[22:23], -v[70:71]
	v_fma_f64 v[86:87], v[18:19], s[26:27], -v[86:87]
	;; [unrolled: 1-line block ×3, first 2 shown]
	v_fma_f64 v[88:89], v[18:19], s[30:31], v[88:89]
	v_fma_f64 v[106:107], v[18:19], s[36:37], -v[14:15]
	v_fma_f64 v[14:15], v[18:19], s[36:37], v[14:15]
	v_mul_f64_e32 v[18:19], s[42:43], v[16:17]
	v_mul_f64_e32 v[16:17], s[20:21], v[16:17]
	v_fma_f64 v[122:123], v[68:69], s[16:17], -v[108:109]
	v_fma_f64 v[108:109], v[68:69], s[16:17], v[108:109]
	v_fma_f64 v[131:132], v[68:69], s[30:31], v[116:117]
	v_fma_f64 v[126:127], v[68:69], s[22:23], -v[112:113]
	v_fma_f64 v[112:113], v[68:69], s[22:23], v[112:113]
	v_fma_f64 v[129:130], v[68:69], s[26:27], -v[114:115]
	;; [unrolled: 2-line block ×3, first 2 shown]
	v_add_f64_e32 v[96:97], v[54:55], v[96:97]
	v_add_f64_e32 v[0:1], v[54:55], v[12:13]
	v_mul_f64_e32 v[12:13], s[38:39], v[82:83]
	v_add_f64_e32 v[124:125], v[52:53], v[124:125]
	v_add_f64_e32 v[92:93], v[54:55], v[92:93]
	;; [unrolled: 1-line block ×7, first 2 shown]
	v_fma_f64 v[120:121], v[68:69], s[10:11], -v[18:19]
	v_fma_f64 v[135:136], v[68:69], s[36:37], v[16:17]
	v_fma_f64 v[16:17], v[68:69], s[36:37], -v[16:17]
	v_fma_f64 v[18:19], v[68:69], s[10:11], v[18:19]
	v_add_f64_e32 v[122:123], v[52:53], v[122:123]
	v_add_f64_e32 v[108:109], v[52:53], v[108:109]
	;; [unrolled: 1-line block ×5, first 2 shown]
	v_mul_f64_e32 v[112:113], s[26:27], v[64:65]
	v_add_f64_e32 v[114:115], v[52:53], v[114:115]
	v_add_f64_e32 v[126:127], v[52:53], v[126:127]
	;; [unrolled: 1-line block ×4, first 2 shown]
	scratch_store_b64 off, v[0:1], off offset:148 ; 8-byte Folded Spill
	v_add_f64_e32 v[0:1], v[52:53], v[110:111]
	v_fma_f64 v[8:9], v[20:21], s[36:37], v[12:13]
	v_fma_f64 v[12:13], v[20:21], s[36:37], -v[12:13]
	v_mov_b32_e32 v111, v84
	v_mul_f64_e32 v[84:85], s[30:31], v[44:45]
	v_add_f64_e32 v[120:121], v[52:53], v[120:121]
	v_add_f64_e32 v[18:19], v[52:53], v[18:19]
	scratch_store_b64 off, v[0:1], off offset:140 ; 8-byte Folded Spill
	v_add_f64_e32 v[0:1], v[54:55], v[98:99]
	v_add_f64_e32 v[8:9], v[8:9], v[92:93]
	;; [unrolled: 1-line block ×5, first 2 shown]
	scratch_store_b64 off, v[0:1], off offset:132 ; 8-byte Folded Spill
	v_add_f64_e32 v[0:1], v[54:55], v[100:101]
	v_add_f64_e32 v[100:101], v[54:55], v[106:107]
	;; [unrolled: 1-line block ×4, first 2 shown]
	scratch_store_b64 off, v[0:1], off offset:124 ; 8-byte Folded Spill
	v_add_f64_e32 v[0:1], v[54:55], v[90:91]
	scratch_store_b64 off, v[0:1], off offset:116 ; 8-byte Folded Spill
	v_add_f64_e32 v[0:1], v[52:53], v[118:119]
	;; [unrolled: 2-line block ×3, first 2 shown]
	v_mul_f64_e32 v[14:15], s[38:39], v[80:81]
	v_dual_mov_b32 v54, v230 :: v_dual_mov_b32 v55, v234
	scratch_store_b64 off, v[0:1], off offset:84 ; 8-byte Folded Spill
	v_add_f64_e32 v[0:1], v[52:53], v[16:17]
	v_mul_f64_e32 v[16:17], s[28:29], v[78:79]
	v_fma_f64 v[10:11], v[22:23], s[36:37], -v[14:15]
	v_fma_f64 v[14:15], v[22:23], s[36:37], v[14:15]
	scratch_store_b64 off, v[0:1], off offset:76 ; 8-byte Folded Spill
	v_fma_f64 v[86:87], v[26:27], s[16:17], v[16:17]
	v_add_f64_e32 v[10:11], v[10:11], v[120:121]
	v_fma_f64 v[16:17], v[26:27], s[16:17], -v[16:17]
	v_add_f64_e32 v[14:15], v[14:15], v[18:19]
	v_fma_f64 v[18:19], v[60:61], s[4:5], v[159:160]
	v_add_f64_e32 v[8:9], v[86:87], v[8:9]
	v_mul_f64_e32 v[86:87], s[16:17], v[30:31]
	v_add_f64_e32 v[12:13], v[16:17], v[12:13]
	s_delay_alu instid0(VALU_DEP_2) | instskip(SKIP_2) | instid1(VALU_DEP_3)
	v_fma_f64 v[88:89], v[28:29], s[46:47], v[86:87]
	v_fma_f64 v[16:17], v[28:29], s[28:29], v[86:87]
	v_mul_f64_e32 v[86:87], s[6:7], v[82:83]
	v_add_f64_e32 v[10:11], v[88:89], v[10:11]
	v_mul_f64_e32 v[88:89], s[54:55], v[38:39]
	s_delay_alu instid0(VALU_DEP_4) | instskip(NEXT) | instid1(VALU_DEP_2)
	v_add_f64_e32 v[14:15], v[16:17], v[14:15]
	v_fma_f64 v[90:91], v[34:35], s[34:35], v[88:89]
	v_fma_f64 v[16:17], v[34:35], s[34:35], -v[88:89]
	v_mul_f64_e32 v[88:89], s[6:7], v[80:81]
	s_delay_alu instid0(VALU_DEP_3) | instskip(SKIP_1) | instid1(VALU_DEP_4)
	v_add_f64_e32 v[8:9], v[90:91], v[8:9]
	v_mul_f64_e32 v[90:91], s[34:35], v[36:37]
	v_add_f64_e32 v[12:13], v[16:17], v[12:13]
	s_delay_alu instid0(VALU_DEP_2) | instskip(SKIP_2) | instid1(VALU_DEP_3)
	v_fma_f64 v[92:93], v[24:25], s[40:41], v[90:91]
	v_fma_f64 v[16:17], v[24:25], s[54:55], v[90:91]
	v_mul_f64_e32 v[90:91], s[48:49], v[78:79]
	v_add_f64_e32 v[10:11], v[92:93], v[10:11]
	v_mul_f64_e32 v[92:93], s[44:45], v[46:47]
	s_delay_alu instid0(VALU_DEP_4) | instskip(NEXT) | instid1(VALU_DEP_2)
	v_add_f64_e32 v[14:15], v[16:17], v[14:15]
	v_fma_f64 v[118:119], v[42:43], s[18:19], v[92:93]
	v_fma_f64 v[16:17], v[42:43], s[18:19], -v[92:93]
	v_fma_f64 v[92:93], v[26:27], s[26:27], v[90:91]
	v_fma_f64 v[90:91], v[26:27], s[26:27], -v[90:91]
	s_delay_alu instid0(VALU_DEP_4) | instskip(SKIP_2) | instid1(VALU_DEP_2)
	v_add_f64_e32 v[8:9], v[118:119], v[8:9]
	v_mul_f64_e32 v[118:119], s[18:19], v[44:45]
	v_add_f64_e32 v[12:13], v[16:17], v[12:13]
	v_fma_f64 v[120:121], v[32:33], s[50:51], v[118:119]
	v_fma_f64 v[16:17], v[32:33], s[44:45], v[118:119]
	s_delay_alu instid0(VALU_DEP_2) | instskip(SKIP_1) | instid1(VALU_DEP_3)
	v_add_f64_e32 v[10:11], v[120:121], v[10:11]
	v_mul_f64_e32 v[120:121], s[6:7], v[58:59]
	v_add_f64_e32 v[14:15], v[16:17], v[14:15]
	s_delay_alu instid0(VALU_DEP_2) | instskip(SKIP_1) | instid1(VALU_DEP_2)
	v_fma_f64 v[135:136], v[50:51], s[30:31], v[120:121]
	v_fma_f64 v[16:17], v[50:51], s[30:31], -v[120:121]
	v_add_f64_e32 v[8:9], v[135:136], v[8:9]
	v_mul_f64_e32 v[135:136], s[30:31], v[56:57]
	s_delay_alu instid0(VALU_DEP_3) | instskip(NEXT) | instid1(VALU_DEP_2)
	v_add_f64_e32 v[12:13], v[16:17], v[12:13]
	v_fma_f64 v[151:152], v[40:41], s[24:25], v[135:136]
	v_fma_f64 v[16:17], v[40:41], s[6:7], v[135:136]
	s_delay_alu instid0(VALU_DEP_2) | instskip(SKIP_1) | instid1(VALU_DEP_3)
	v_add_f64_e32 v[10:11], v[151:152], v[10:11]
	v_mul_f64_e32 v[151:152], s[14:15], v[66:67]
	v_add_f64_e32 v[14:15], v[16:17], v[14:15]
	s_delay_alu instid0(VALU_DEP_2) | instskip(SKIP_1) | instid1(VALU_DEP_2)
	v_fma_f64 v[153:154], v[62:63], s[22:23], v[151:152]
	v_fma_f64 v[16:17], v[62:63], s[22:23], -v[151:152]
	v_add_f64_e32 v[8:9], v[153:154], v[8:9]
	v_mul_f64_e32 v[153:154], s[22:23], v[64:65]
	s_delay_alu instid0(VALU_DEP_3) | instskip(NEXT) | instid1(VALU_DEP_2)
	v_add_f64_e32 v[12:13], v[16:17], v[12:13]
	v_fma_f64 v[155:156], v[48:49], s[52:53], v[153:154]
	v_fma_f64 v[16:17], v[48:49], s[14:15], v[153:154]
	s_delay_alu instid0(VALU_DEP_2) | instskip(SKIP_1) | instid1(VALU_DEP_3)
	v_add_f64_e32 v[155:156], v[155:156], v[10:11]
	v_fma_f64 v[10:11], v[72:73], s[26:27], v[157:158]
	v_add_f64_e32 v[16:17], v[16:17], v[14:15]
	v_fma_f64 v[14:15], v[72:73], s[26:27], -v[157:158]
	v_mul_f64_e32 v[157:158], s[14:15], v[74:75]
	s_delay_alu instid0(VALU_DEP_4) | instskip(SKIP_4) | instid1(VALU_DEP_4)
	v_add_f64_e32 v[2:3], v[10:11], v[8:9]
	v_fma_f64 v[8:9], v[60:61], s[48:49], v[159:160]
	v_mul_f64_e32 v[159:160], s[22:23], v[76:77]
	v_fma_f64 v[10:11], v[62:63], s[18:19], -v[6:7]
	v_fma_f64 v[6:7], v[62:63], s[18:19], v[6:7]
	v_add_f64_e32 v[0:1], v[8:9], v[155:156]
	v_mul_f64_e32 v[8:9], s[16:17], v[56:57]
	scratch_store_b128 off, v[0:3], off offset:60 ; 16-byte Folded Spill
	v_add_f64_e32 v[0:1], v[18:19], v[16:17]
	v_fma_f64 v[16:17], v[20:21], s[30:31], v[86:87]
	v_fma_f64 v[18:19], v[22:23], s[30:31], -v[88:89]
	v_fma_f64 v[86:87], v[20:21], s[30:31], -v[86:87]
	v_fma_f64 v[88:89], v[22:23], s[30:31], v[88:89]
	v_add_f64_e32 v[2:3], v[14:15], v[12:13]
	v_mul_f64_e32 v[12:13], s[36:37], v[36:37]
	v_fma_f64 v[14:15], v[48:49], s[50:51], v[4:5]
	v_fma_f64 v[4:5], v[48:49], s[44:45], v[4:5]
	v_add_f64_e32 v[16:17], v[16:17], v[94:95]
	v_add_f64_e32 v[18:19], v[18:19], v[122:123]
	;; [unrolled: 1-line block ×4, first 2 shown]
	v_mul_f64_e32 v[139:140], s[4:5], v[46:47]
	scratch_store_b128 off, v[0:3], off offset:92 ; 16-byte Folded Spill
	v_fma_f64 v[2:3], v[24:25], s[38:39], v[12:13]
	v_mul_f64_e32 v[0:1], s[28:29], v[58:59]
	v_fma_f64 v[12:13], v[24:25], s[20:21], v[12:13]
	v_add_f64_e32 v[16:17], v[92:93], v[16:17]
	v_mul_f64_e32 v[92:93], s[26:27], v[30:31]
	v_add_f64_e32 v[86:87], v[90:91], v[86:87]
	s_delay_alu instid0(VALU_DEP_2) | instskip(SKIP_2) | instid1(VALU_DEP_3)
	v_fma_f64 v[94:95], v[28:29], s[4:5], v[92:93]
	v_fma_f64 v[90:91], v[28:29], s[48:49], v[92:93]
	;; [unrolled: 1-line block ×3, first 2 shown]
	v_add_f64_e32 v[18:19], v[94:95], v[18:19]
	v_mul_f64_e32 v[94:95], s[50:51], v[38:39]
	s_delay_alu instid0(VALU_DEP_4) | instskip(NEXT) | instid1(VALU_DEP_2)
	v_add_f64_e32 v[88:89], v[90:91], v[88:89]
	v_fma_f64 v[118:119], v[34:35], s[18:19], v[94:95]
	v_fma_f64 v[90:91], v[34:35], s[18:19], -v[94:95]
	s_delay_alu instid0(VALU_DEP_2) | instskip(SKIP_1) | instid1(VALU_DEP_3)
	v_add_f64_e32 v[16:17], v[118:119], v[16:17]
	v_mul_f64_e32 v[118:119], s[18:19], v[36:37]
	v_add_f64_e32 v[86:87], v[90:91], v[86:87]
	s_delay_alu instid0(VALU_DEP_2) | instskip(SKIP_2) | instid1(VALU_DEP_3)
	v_fma_f64 v[120:121], v[24:25], s[44:45], v[118:119]
	v_fma_f64 v[90:91], v[24:25], s[50:51], v[118:119]
	v_mul_f64_e32 v[118:119], s[52:53], v[82:83]
	v_add_f64_e32 v[18:19], v[120:121], v[18:19]
	v_mul_f64_e32 v[120:121], s[20:21], v[46:47]
	s_delay_alu instid0(VALU_DEP_4) | instskip(NEXT) | instid1(VALU_DEP_2)
	v_add_f64_e32 v[88:89], v[90:91], v[88:89]
	v_fma_f64 v[122:123], v[42:43], s[36:37], v[120:121]
	v_fma_f64 v[90:91], v[42:43], s[36:37], -v[120:121]
	v_mul_f64_e32 v[120:121], s[52:53], v[80:81]
	s_delay_alu instid0(VALU_DEP_3) | instskip(SKIP_1) | instid1(VALU_DEP_4)
	v_add_f64_e32 v[16:17], v[122:123], v[16:17]
	v_mul_f64_e32 v[122:123], s[36:37], v[44:45]
	v_add_f64_e32 v[86:87], v[90:91], v[86:87]
	s_delay_alu instid0(VALU_DEP_2) | instskip(SKIP_2) | instid1(VALU_DEP_3)
	v_fma_f64 v[135:136], v[32:33], s[38:39], v[122:123]
	v_fma_f64 v[90:91], v[32:33], s[20:21], v[122:123]
	v_mul_f64_e32 v[122:123], s[20:21], v[78:79]
	v_add_f64_e32 v[18:19], v[135:136], v[18:19]
	v_mul_f64_e32 v[135:136], s[42:43], v[58:59]
	s_delay_alu instid0(VALU_DEP_4) | instskip(NEXT) | instid1(VALU_DEP_4)
	v_add_f64_e32 v[88:89], v[90:91], v[88:89]
	v_fma_f64 v[94:95], v[26:27], s[36:37], v[122:123]
	s_delay_alu instid0(VALU_DEP_3) | instskip(SKIP_2) | instid1(VALU_DEP_3)
	v_fma_f64 v[137:138], v[50:51], s[10:11], v[135:136]
	v_fma_f64 v[90:91], v[50:51], s[10:11], -v[135:136]
	v_mul_f64_e32 v[135:136], s[28:29], v[38:39]
	v_add_f64_e32 v[16:17], v[137:138], v[16:17]
	v_mul_f64_e32 v[137:138], s[10:11], v[56:57]
	s_delay_alu instid0(VALU_DEP_4) | instskip(NEXT) | instid1(VALU_DEP_2)
	v_add_f64_e32 v[86:87], v[90:91], v[86:87]
	v_fma_f64 v[151:152], v[40:41], s[56:57], v[137:138]
	v_fma_f64 v[90:91], v[40:41], s[42:43], v[137:138]
	v_mul_f64_e32 v[137:138], s[16:17], v[36:37]
	s_delay_alu instid0(VALU_DEP_3) | instskip(SKIP_1) | instid1(VALU_DEP_4)
	v_add_f64_e32 v[18:19], v[151:152], v[18:19]
	v_mul_f64_e32 v[151:152], s[54:55], v[66:67]
	v_add_f64_e32 v[88:89], v[90:91], v[88:89]
	s_delay_alu instid0(VALU_DEP_2) | instskip(SKIP_3) | instid1(VALU_DEP_4)
	v_fma_f64 v[153:154], v[62:63], s[34:35], v[151:152]
	v_fma_f64 v[90:91], v[62:63], s[34:35], -v[151:152]
	v_mul_f64_e32 v[151:152], s[26:27], v[44:45]
	v_mul_f64_e32 v[44:45], s[10:11], v[44:45]
	v_add_f64_e32 v[16:17], v[153:154], v[16:17]
	v_mul_f64_e32 v[153:154], s[34:35], v[64:65]
	v_add_f64_e32 v[86:87], v[90:91], v[86:87]
	s_delay_alu instid0(VALU_DEP_2) | instskip(SKIP_2) | instid1(VALU_DEP_3)
	v_fma_f64 v[90:91], v[48:49], s[54:55], v[153:154]
	v_fma_f64 v[155:156], v[48:49], s[40:41], v[153:154]
	v_mul_f64_e32 v[153:154], s[40:41], v[58:59]
	v_add_f64_e32 v[90:91], v[90:91], v[88:89]
	s_delay_alu instid0(VALU_DEP_3)
	v_add_f64_e32 v[155:156], v[155:156], v[18:19]
	v_fma_f64 v[18:19], v[72:73], s[22:23], v[157:158]
	v_fma_f64 v[88:89], v[72:73], s[22:23], -v[157:158]
	v_mul_f64_e32 v[157:158], s[42:43], v[66:67]
	v_add_f64_e32 v[141:142], v[92:93], v[90:91]
	v_fma_f64 v[90:91], v[20:21], s[22:23], v[118:119]
	v_fma_f64 v[92:93], v[22:23], s[22:23], -v[120:121]
	v_add_f64_e32 v[147:148], v[18:19], v[16:17]
	v_mov_b32_e32 v19, v232
	v_fma_f64 v[16:17], v[60:61], s[52:53], v[159:160]
	v_mul_f64_e32 v[159:160], s[10:11], v[64:65]
	v_add_f64_e32 v[143:144], v[88:89], v[86:87]
	v_dual_mov_b32 v86, v128 :: v_dual_mov_b32 v87, v218
	v_mov_b32_e32 v128, v229
	v_mul_f64_e32 v[229:230], s[16:17], v[76:77]
	v_mov_b32_e32 v218, v233
	v_mul_f64_e32 v[233:234], s[42:43], v[82:83]
	v_mov_b32_e32 v18, v231
	v_dual_mov_b32 v110, v167 :: v_dual_mov_b32 v167, v217
	v_mul_f64_e32 v[216:217], s[38:39], v[38:39]
	scratch_load_b64 v[88:89], off, off offset:148 th:TH_LOAD_LU ; 8-byte Folded Reload
	v_mul_f64_e32 v[64:65], s[36:37], v[64:65]
	v_add_f64_e32 v[90:91], v[90:91], v[96:97]
	v_add_f64_e32 v[92:93], v[92:93], v[124:125]
	v_mul_f64_e32 v[124:125], s[36:37], v[30:31]
	v_fma_f64 v[96:97], v[22:23], s[34:35], v[168:169]
	v_add_f64_e32 v[145:146], v[16:17], v[155:156]
	v_mul_f64_e32 v[155:156], s[34:35], v[56:57]
	v_mul_f64_e32 v[16:17], s[28:29], v[74:75]
	;; [unrolled: 1-line block ×3, first 2 shown]
	v_add_f64_e32 v[90:91], v[94:95], v[90:91]
	v_fma_f64 v[94:95], v[28:29], s[38:39], v[124:125]
	v_add_f64_e32 v[96:97], v[96:97], v[104:105]
	v_fma_f64 v[104:105], v[26:27], s[18:19], -v[198:199]
	s_delay_alu instid0(VALU_DEP_3) | instskip(SKIP_1) | instid1(VALU_DEP_1)
	v_add_f64_e32 v[92:93], v[94:95], v[92:93]
	v_fma_f64 v[94:95], v[34:35], s[16:17], v[135:136]
	v_add_f64_e32 v[90:91], v[94:95], v[90:91]
	v_fma_f64 v[94:95], v[24:25], s[46:47], v[137:138]
	s_delay_alu instid0(VALU_DEP_1) | instskip(SKIP_1) | instid1(VALU_DEP_1)
	v_add_f64_e32 v[92:93], v[94:95], v[92:93]
	v_fma_f64 v[94:95], v[42:43], s[26:27], v[139:140]
	v_add_f64_e32 v[90:91], v[94:95], v[90:91]
	v_fma_f64 v[94:95], v[32:33], s[48:49], v[151:152]
	s_delay_alu instid0(VALU_DEP_1) | instskip(SKIP_1) | instid1(VALU_DEP_1)
	;; [unrolled: 5-line block ×5, first 2 shown]
	v_add_f64_e32 v[90:91], v[90:91], v[94:95]
	v_fma_f64 v[94:95], v[20:21], s[34:35], -v[165:166]
	v_add_f64_e32 v[94:95], v[94:95], v[100:101]
	v_fma_f64 v[100:101], v[26:27], s[30:31], -v[170:171]
	s_delay_alu instid0(VALU_DEP_1) | instskip(SKIP_1) | instid1(VALU_DEP_1)
	v_add_f64_e32 v[94:95], v[100:101], v[94:95]
	v_fma_f64 v[100:101], v[28:29], s[24:25], v[172:173]
	v_add_f64_e32 v[96:97], v[100:101], v[96:97]
	v_fma_f64 v[100:101], v[34:35], s[26:27], -v[174:175]
	s_delay_alu instid0(VALU_DEP_1) | instskip(SKIP_1) | instid1(VALU_DEP_1)
	v_add_f64_e32 v[94:95], v[100:101], v[94:95]
	v_fma_f64 v[100:101], v[24:25], s[48:49], v[176:177]
	;; [unrolled: 5-line block ×6, first 2 shown]
	v_add_f64_e32 v[94:95], v[94:95], v[100:101]
	v_fma_f64 v[100:101], v[20:21], s[26:27], -v[194:195]
	s_delay_alu instid0(VALU_DEP_1) | instskip(SKIP_1) | instid1(VALU_DEP_2)
	v_add_f64_e32 v[98:99], v[100:101], v[98:99]
	v_fma_f64 v[100:101], v[22:23], s[26:27], v[196:197]
	v_add_f64_e32 v[98:99], v[104:105], v[98:99]
	s_delay_alu instid0(VALU_DEP_2) | instskip(SKIP_1) | instid1(VALU_DEP_1)
	v_add_f64_e32 v[100:101], v[100:101], v[106:107]
	v_fma_f64 v[104:105], v[28:29], s[44:45], v[200:201]
	v_add_f64_e32 v[100:101], v[104:105], v[100:101]
	v_fma_f64 v[104:105], v[34:35], s[10:11], -v[202:203]
	s_delay_alu instid0(VALU_DEP_1) | instskip(SKIP_1) | instid1(VALU_DEP_1)
	v_add_f64_e32 v[98:99], v[104:105], v[98:99]
	v_fma_f64 v[104:105], v[24:25], s[42:43], v[204:205]
	v_add_f64_e32 v[100:101], v[104:105], v[100:101]
	v_fma_f64 v[104:105], v[42:43], s[16:17], -v[206:207]
	s_delay_alu instid0(VALU_DEP_1) | instskip(SKIP_1) | instid1(VALU_DEP_1)
	;; [unrolled: 5-line block ×6, first 2 shown]
	v_add_f64_e32 v[102:103], v[104:105], v[102:103]
	v_fma_f64 v[104:105], v[22:23], s[18:19], v[227:228]
	v_add_f64_e32 v[104:105], v[104:105], v[131:132]
	v_mul_f64_e32 v[131:132], s[56:57], v[78:79]
	s_delay_alu instid0(VALU_DEP_1) | instskip(NEXT) | instid1(VALU_DEP_1)
	v_fma_f64 v[106:107], v[26:27], s[10:11], -v[131:132]
	v_add_f64_e32 v[102:103], v[106:107], v[102:103]
	v_fma_f64 v[106:107], v[28:29], s[56:57], v[235:236]
	s_delay_alu instid0(VALU_DEP_1) | instskip(SKIP_1) | instid1(VALU_DEP_1)
	v_add_f64_e32 v[104:105], v[106:107], v[104:105]
	v_fma_f64 v[106:107], v[34:35], s[22:23], -v[237:238]
	v_add_f64_e32 v[102:103], v[106:107], v[102:103]
	v_fma_f64 v[106:107], v[24:25], s[52:53], v[239:240]
	s_delay_alu instid0(VALU_DEP_1) | instskip(SKIP_1) | instid1(VALU_DEP_1)
	v_add_f64_e32 v[104:105], v[106:107], v[104:105]
	;; [unrolled: 5-line block ×6, first 2 shown]
	v_fma_f64 v[106:107], v[20:21], s[10:11], -v[233:234]
	v_add_f64_e32 v[106:107], v[106:107], v[149:150]
	v_mul_f64_e32 v[149:150], s[42:43], v[80:81]
	v_mul_f64_e32 v[80:81], s[46:47], v[80:81]
	s_delay_alu instid0(VALU_DEP_2) | instskip(NEXT) | instid1(VALU_DEP_1)
	v_fma_f64 v[108:109], v[22:23], s[10:11], v[149:150]
	v_add_f64_e32 v[108:109], v[108:109], v[114:115]
	v_mul_f64_e32 v[114:115], s[52:53], v[78:79]
	v_mul_f64_e32 v[78:79], s[54:55], v[78:79]
	s_delay_alu instid0(VALU_DEP_2) | instskip(NEXT) | instid1(VALU_DEP_1)
	v_fma_f64 v[231:232], v[26:27], s[22:23], -v[114:115]
	v_add_f64_e32 v[106:107], v[231:232], v[106:107]
	v_mul_f64_e32 v[231:232], s[22:23], v[30:31]
	v_mul_f64_e32 v[30:31], s[34:35], v[30:31]
	s_delay_alu instid0(VALU_DEP_2) | instskip(NEXT) | instid1(VALU_DEP_1)
	v_fma_f64 v[52:53], v[28:29], s[52:53], v[231:232]
	v_add_f64_e32 v[52:53], v[52:53], v[108:109]
	v_fma_f64 v[108:109], v[34:35], s[36:37], -v[216:217]
	s_delay_alu instid0(VALU_DEP_2) | instskip(SKIP_1) | instid1(VALU_DEP_3)
	v_add_f64_e32 v[2:3], v[2:3], v[52:53]
	v_mul_f64_e32 v[52:53], s[24:25], v[46:47]
	v_add_f64_e32 v[106:107], v[108:109], v[106:107]
	s_delay_alu instid0(VALU_DEP_2) | instskip(NEXT) | instid1(VALU_DEP_1)
	v_fma_f64 v[108:109], v[42:43], s[30:31], -v[52:53]
	v_add_f64_e32 v[106:107], v[108:109], v[106:107]
	v_fma_f64 v[108:109], v[32:33], s[24:25], v[84:85]
	s_delay_alu instid0(VALU_DEP_1) | instskip(SKIP_2) | instid1(VALU_DEP_2)
	v_add_f64_e32 v[2:3], v[108:109], v[2:3]
	v_fma_f64 v[108:109], v[50:51], s[16:17], -v[0:1]
	v_fma_f64 v[0:1], v[50:51], s[16:17], v[0:1]
	v_add_f64_e32 v[106:107], v[108:109], v[106:107]
	v_fma_f64 v[108:109], v[40:41], s[28:29], v[8:9]
	v_fma_f64 v[8:9], v[40:41], s[46:47], v[8:9]
	s_delay_alu instid0(VALU_DEP_3) | instskip(NEXT) | instid1(VALU_DEP_3)
	v_add_f64_e32 v[10:11], v[10:11], v[106:107]
	v_add_f64_e32 v[2:3], v[108:109], v[2:3]
	s_delay_alu instid0(VALU_DEP_1) | instskip(SKIP_1) | instid1(VALU_DEP_1)
	v_add_f64_e32 v[2:3], v[14:15], v[2:3]
	v_mul_f64_e32 v[14:15], s[54:55], v[74:75]
	v_fma_f64 v[106:107], v[72:73], s[34:35], -v[14:15]
	s_delay_alu instid0(VALU_DEP_1) | instskip(SKIP_1) | instid1(VALU_DEP_1)
	v_add_f64_e32 v[108:109], v[106:107], v[10:11]
	v_mul_f64_e32 v[10:11], s[34:35], v[76:77]
	v_fma_f64 v[106:107], v[60:61], s[54:55], v[10:11]
	s_delay_alu instid0(VALU_DEP_1) | instskip(SKIP_1) | instid1(VALU_DEP_1)
	v_add_f64_e32 v[106:107], v[106:107], v[2:3]
	v_mul_f64_e32 v[2:3], s[46:47], v[82:83]
	v_fma_f64 v[82:83], v[20:21], s[16:17], -v[2:3]
	v_fma_f64 v[2:3], v[20:21], s[16:17], v[2:3]
	s_delay_alu instid0(VALU_DEP_2) | instskip(SKIP_1) | instid1(VALU_DEP_1)
	v_add_f64_e32 v[68:69], v[82:83], v[68:69]
	v_fma_f64 v[82:83], v[22:23], s[16:17], v[80:81]
	v_add_f64_e32 v[70:71], v[82:83], v[70:71]
	v_fma_f64 v[82:83], v[26:27], s[34:35], -v[78:79]
	v_fma_f64 v[78:79], v[26:27], s[34:35], v[78:79]
	s_delay_alu instid0(VALU_DEP_2) | instskip(SKIP_2) | instid1(VALU_DEP_2)
	v_add_f64_e32 v[68:69], v[82:83], v[68:69]
	v_fma_f64 v[82:83], v[28:29], s[54:55], v[30:31]
	v_fma_f64 v[30:31], v[28:29], s[40:41], v[30:31]
	v_add_f64_e32 v[70:71], v[82:83], v[70:71]
	v_mul_f64_e32 v[82:83], s[24:25], v[38:39]
	s_delay_alu instid0(VALU_DEP_1) | instskip(NEXT) | instid1(VALU_DEP_1)
	v_fma_f64 v[38:39], v[34:35], s[30:31], -v[82:83]
	v_add_f64_e32 v[38:39], v[38:39], v[68:69]
	v_mul_f64_e32 v[68:69], s[30:31], v[36:37]
	s_delay_alu instid0(VALU_DEP_1) | instskip(SKIP_1) | instid1(VALU_DEP_2)
	v_fma_f64 v[36:37], v[24:25], s[24:25], v[68:69]
	v_fma_f64 v[68:69], v[24:25], s[6:7], v[68:69]
	v_add_f64_e32 v[36:37], v[36:37], v[70:71]
	v_mul_f64_e32 v[70:71], s[42:43], v[46:47]
	s_delay_alu instid0(VALU_DEP_1) | instskip(NEXT) | instid1(VALU_DEP_1)
	v_fma_f64 v[46:47], v[42:43], s[10:11], -v[70:71]
	v_add_f64_e32 v[38:39], v[46:47], v[38:39]
	v_fma_f64 v[46:47], v[32:33], s[42:43], v[44:45]
	v_fma_f64 v[44:45], v[32:33], s[56:57], v[44:45]
	s_delay_alu instid0(VALU_DEP_2) | instskip(SKIP_1) | instid1(VALU_DEP_1)
	v_add_f64_e32 v[36:37], v[46:47], v[36:37]
	v_mul_f64_e32 v[46:47], s[4:5], v[58:59]
	v_fma_f64 v[58:59], v[50:51], s[26:27], -v[46:47]
	s_delay_alu instid0(VALU_DEP_1) | instskip(SKIP_1) | instid1(VALU_DEP_1)
	v_add_f64_e32 v[38:39], v[58:59], v[38:39]
	v_fma_f64 v[58:59], v[40:41], s[4:5], v[56:57]
	v_add_f64_e32 v[36:37], v[58:59], v[36:37]
	v_mul_f64_e32 v[58:59], s[20:21], v[66:67]
	s_delay_alu instid0(VALU_DEP_1) | instskip(NEXT) | instid1(VALU_DEP_1)
	v_fma_f64 v[66:67], v[62:63], s[36:37], -v[58:59]
	v_add_f64_e32 v[38:39], v[66:67], v[38:39]
	v_fma_f64 v[66:67], v[48:49], s[20:21], v[64:65]
	s_delay_alu instid0(VALU_DEP_1) | instskip(SKIP_2) | instid1(VALU_DEP_2)
	v_add_f64_e32 v[36:37], v[66:67], v[36:37]
	v_mul_f64_e32 v[66:67], s[44:45], v[74:75]
	v_mul_f64_e32 v[74:75], s[18:19], v[76:77]
	v_fma_f64 v[76:77], v[72:73], s[18:19], -v[66:67]
	s_delay_alu instid0(VALU_DEP_1) | instskip(NEXT) | instid1(VALU_DEP_3)
	v_add_f64_e32 v[38:39], v[76:77], v[38:39]
	v_fma_f64 v[76:77], v[60:61], s[44:45], v[74:75]
	s_delay_alu instid0(VALU_DEP_1)
	v_add_f64_e32 v[36:37], v[76:77], v[36:37]
	v_fma_f64 v[76:77], v[20:21], s[22:23], -v[118:119]
	v_fma_f64 v[118:119], v[22:23], s[22:23], v[120:121]
	v_fma_f64 v[120:121], v[26:27], s[36:37], -v[122:123]
	v_fma_f64 v[122:123], v[60:61], s[6:7], v[163:164]
	s_wait_loadcnt 0x0
	s_delay_alu instid0(VALU_DEP_4)
	v_add_f64_e32 v[76:77], v[76:77], v[88:89]
	scratch_load_b64 v[88:89], off, off offset:140 th:TH_LOAD_LU ; 8-byte Folded Reload
	v_add_f64_e32 v[76:77], v[120:121], v[76:77]
	v_fma_f64 v[120:121], v[28:29], s[20:21], v[124:125]
	s_wait_loadcnt 0x0
	v_add_f64_e32 v[118:119], v[118:119], v[88:89]
	s_delay_alu instid0(VALU_DEP_1) | instskip(SKIP_1) | instid1(VALU_DEP_1)
	v_add_f64_e32 v[118:119], v[120:121], v[118:119]
	v_fma_f64 v[120:121], v[34:35], s[16:17], -v[135:136]
	v_add_f64_e32 v[76:77], v[120:121], v[76:77]
	v_fma_f64 v[120:121], v[24:25], s[28:29], v[137:138]
	s_delay_alu instid0(VALU_DEP_1) | instskip(SKIP_1) | instid1(VALU_DEP_1)
	v_add_f64_e32 v[118:119], v[120:121], v[118:119]
	v_fma_f64 v[120:121], v[42:43], s[26:27], -v[139:140]
	v_add_f64_e32 v[76:77], v[120:121], v[76:77]
	v_fma_f64 v[120:121], v[32:33], s[4:5], v[151:152]
	s_delay_alu instid0(VALU_DEP_1) | instskip(SKIP_1) | instid1(VALU_DEP_1)
	v_add_f64_e32 v[118:119], v[120:121], v[118:119]
	v_fma_f64 v[120:121], v[50:51], s[34:35], -v[153:154]
	v_add_f64_e32 v[76:77], v[120:121], v[76:77]
	v_fma_f64 v[120:121], v[40:41], s[40:41], v[155:156]
	s_delay_alu instid0(VALU_DEP_1) | instskip(SKIP_1) | instid1(VALU_DEP_1)
	v_add_f64_e32 v[118:119], v[120:121], v[118:119]
	v_fma_f64 v[120:121], v[62:63], s[10:11], -v[157:158]
	v_add_f64_e32 v[76:77], v[120:121], v[76:77]
	v_fma_f64 v[120:121], v[48:49], s[42:43], v[159:160]
	s_delay_alu instid0(VALU_DEP_1) | instskip(SKIP_1) | instid1(VALU_DEP_2)
	v_add_f64_e32 v[118:119], v[120:121], v[118:119]
	v_fma_f64 v[120:121], v[72:73], s[30:31], -v[161:162]
	v_add_f64_e32 v[118:119], v[122:123], v[118:119]
	s_delay_alu instid0(VALU_DEP_2) | instskip(SKIP_4) | instid1(VALU_DEP_2)
	v_add_f64_e32 v[120:121], v[120:121], v[76:77]
	scratch_load_b64 v[76:77], off, off offset:132 th:TH_LOAD_LU ; 8-byte Folded Reload
	s_wait_loadcnt 0x0
	v_add_f64_e32 v[2:3], v[2:3], v[76:77]
	v_fma_f64 v[76:77], v[22:23], s[16:17], -v[80:81]
	v_add_f64_e32 v[2:3], v[78:79], v[2:3]
	s_delay_alu instid0(VALU_DEP_2) | instskip(NEXT) | instid1(VALU_DEP_1)
	v_add_f64_e32 v[76:77], v[76:77], v[126:127]
	v_add_f64_e32 v[30:31], v[30:31], v[76:77]
	v_fma_f64 v[76:77], v[34:35], s[30:31], v[82:83]
	s_delay_alu instid0(VALU_DEP_2) | instskip(NEXT) | instid1(VALU_DEP_2)
	v_add_f64_e32 v[30:31], v[68:69], v[30:31]
	v_add_f64_e32 v[2:3], v[76:77], v[2:3]
	v_fma_f64 v[68:69], v[42:43], s[10:11], v[70:71]
	s_delay_alu instid0(VALU_DEP_3) | instskip(SKIP_1) | instid1(VALU_DEP_3)
	v_add_f64_e32 v[30:31], v[44:45], v[30:31]
	v_fma_f64 v[44:45], v[50:51], s[26:27], v[46:47]
	v_add_f64_e32 v[2:3], v[68:69], v[2:3]
	v_fma_f64 v[46:47], v[60:61], s[50:51], v[74:75]
	s_delay_alu instid0(VALU_DEP_2) | instskip(SKIP_1) | instid1(VALU_DEP_1)
	v_add_f64_e32 v[2:3], v[44:45], v[2:3]
	v_fma_f64 v[44:45], v[40:41], s[48:49], v[56:57]
	v_add_f64_e32 v[30:31], v[44:45], v[30:31]
	v_fma_f64 v[44:45], v[62:63], s[36:37], v[58:59]
	s_delay_alu instid0(VALU_DEP_1) | instskip(SKIP_1) | instid1(VALU_DEP_1)
	v_add_f64_e32 v[2:3], v[44:45], v[2:3]
	v_fma_f64 v[44:45], v[48:49], s[38:39], v[64:65]
	v_add_f64_e32 v[30:31], v[44:45], v[30:31]
	v_fma_f64 v[44:45], v[72:73], s[18:19], v[66:67]
	s_delay_alu instid0(VALU_DEP_2)
	v_add_f64_e32 v[56:57], v[46:47], v[30:31]
	scratch_load_b64 v[30:31], off, off offset:124 th:TH_LOAD_LU ; 8-byte Folded Reload
	v_add_f64_e32 v[58:59], v[44:45], v[2:3]
	v_fma_f64 v[2:3], v[20:21], s[10:11], v[233:234]
	v_dual_mov_b32 v233, v218 :: v_dual_mov_b32 v234, v55
	v_mov_b32_e32 v218, v87
	s_wait_loadcnt 0x0
	s_delay_alu instid0(VALU_DEP_3) | instskip(SKIP_1) | instid1(VALU_DEP_1)
	v_add_f64_e32 v[2:3], v[2:3], v[30:31]
	v_fma_f64 v[30:31], v[26:27], s[22:23], v[114:115]
	v_add_f64_e32 v[2:3], v[30:31], v[2:3]
	v_fma_f64 v[30:31], v[34:35], s[36:37], v[216:217]
	v_mov_b32_e32 v217, v167
	s_delay_alu instid0(VALU_DEP_2) | instskip(SKIP_1) | instid1(VALU_DEP_1)
	v_add_f64_e32 v[2:3], v[30:31], v[2:3]
	v_fma_f64 v[30:31], v[42:43], s[30:31], v[52:53]
	v_add_f64_e32 v[2:3], v[30:31], v[2:3]
	v_fma_f64 v[30:31], v[28:29], s[14:15], v[231:232]
	v_dual_mov_b32 v231, v18 :: v_dual_mov_b32 v232, v19
	s_delay_alu instid0(VALU_DEP_3) | instskip(SKIP_1) | instid1(VALU_DEP_2)
	v_add_f64_e32 v[0:1], v[0:1], v[2:3]
	v_fma_f64 v[2:3], v[22:23], s[10:11], -v[149:150]
	v_add_f64_e32 v[0:1], v[6:7], v[0:1]
	s_delay_alu instid0(VALU_DEP_2) | instskip(SKIP_1) | instid1(VALU_DEP_2)
	v_add_f64_e32 v[2:3], v[2:3], v[129:130]
	v_fma_f64 v[6:7], v[60:61], s[40:41], v[10:11]
	v_add_f64_e32 v[2:3], v[30:31], v[2:3]
	s_delay_alu instid0(VALU_DEP_1) | instskip(SKIP_2) | instid1(VALU_DEP_2)
	v_add_f64_e32 v[2:3], v[12:13], v[2:3]
	v_fma_f64 v[12:13], v[32:33], s[6:7], v[84:85]
	v_mov_b32_e32 v84, v111
	v_add_f64_e32 v[2:3], v[12:13], v[2:3]
	s_delay_alu instid0(VALU_DEP_1) | instskip(SKIP_3) | instid1(VALU_DEP_2)
	v_add_f64_e32 v[2:3], v[8:9], v[2:3]
	scratch_load_b64 v[8:9], off, off offset:76 th:TH_LOAD_LU ; 8-byte Folded Reload
	v_add_f64_e32 v[2:3], v[4:5], v[2:3]
	v_fma_f64 v[4:5], v[72:73], s[34:35], v[14:15]
	v_add_f64_e32 v[64:65], v[6:7], v[2:3]
	s_delay_alu instid0(VALU_DEP_2)
	v_add_f64_e32 v[66:67], v[4:5], v[0:1]
	v_fma_f64 v[0:1], v[20:21], s[18:19], v[225:226]
	v_fma_f64 v[2:3], v[22:23], s[18:19], -v[227:228]
	v_fma_f64 v[4:5], v[26:27], s[10:11], v[131:132]
	v_fma_f64 v[6:7], v[60:61], s[46:47], v[229:230]
	v_dual_mov_b32 v229, v128 :: v_dual_mov_b32 v230, v54
	v_mov_b32_e32 v128, v86
	v_add_f64_e32 v[0:1], v[0:1], v[133:134]
	v_add_f64_e32 v[2:3], v[2:3], v[116:117]
	s_delay_alu instid0(VALU_DEP_2) | instskip(SKIP_1) | instid1(VALU_DEP_1)
	v_add_f64_e32 v[0:1], v[4:5], v[0:1]
	v_fma_f64 v[4:5], v[28:29], s[42:43], v[235:236]
	v_add_f64_e32 v[2:3], v[4:5], v[2:3]
	v_fma_f64 v[4:5], v[34:35], s[22:23], v[237:238]
	s_delay_alu instid0(VALU_DEP_1) | instskip(SKIP_1) | instid1(VALU_DEP_1)
	v_add_f64_e32 v[0:1], v[4:5], v[0:1]
	v_fma_f64 v[4:5], v[24:25], s[14:15], v[239:240]
	v_add_f64_e32 v[2:3], v[4:5], v[2:3]
	v_fma_f64 v[4:5], v[42:43], s[34:35], v[241:242]
	s_delay_alu instid0(VALU_DEP_1) | instskip(SKIP_1) | instid1(VALU_DEP_1)
	;; [unrolled: 5-line block ×4, first 2 shown]
	v_add_f64_e32 v[0:1], v[4:5], v[0:1]
	v_fma_f64 v[4:5], v[48:49], s[4:5], v[112:113]
	v_add_f64_e32 v[2:3], v[4:5], v[2:3]
	v_fma_f64 v[4:5], v[72:73], s[16:17], v[16:17]
	s_delay_alu instid0(VALU_DEP_2)
	v_add_f64_e32 v[74:75], v[6:7], v[2:3]
	scratch_load_b64 v[2:3], off, off offset:116 th:TH_LOAD_LU ; 8-byte Folded Reload
	v_add_f64_e32 v[76:77], v[4:5], v[0:1]
	scratch_load_b64 v[4:5], off, off offset:108 th:TH_LOAD_LU ; 8-byte Folded Reload
	v_fma_f64 v[0:1], v[20:21], s[26:27], v[194:195]
	v_fma_f64 v[6:7], v[60:61], s[20:21], v[223:224]
	s_wait_loadcnt 0x1
	s_delay_alu instid0(VALU_DEP_2) | instskip(SKIP_2) | instid1(VALU_DEP_1)
	v_add_f64_e32 v[0:1], v[0:1], v[2:3]
	v_fma_f64 v[2:3], v[22:23], s[26:27], -v[196:197]
	s_wait_loadcnt 0x0
	v_add_f64_e32 v[2:3], v[2:3], v[4:5]
	v_fma_f64 v[4:5], v[26:27], s[18:19], v[198:199]
	s_delay_alu instid0(VALU_DEP_1) | instskip(SKIP_1) | instid1(VALU_DEP_1)
	v_add_f64_e32 v[0:1], v[4:5], v[0:1]
	v_fma_f64 v[4:5], v[28:29], s[50:51], v[200:201]
	v_add_f64_e32 v[2:3], v[4:5], v[2:3]
	v_fma_f64 v[4:5], v[34:35], s[10:11], v[202:203]
	s_delay_alu instid0(VALU_DEP_1) | instskip(SKIP_1) | instid1(VALU_DEP_1)
	v_add_f64_e32 v[0:1], v[4:5], v[0:1]
	v_fma_f64 v[4:5], v[24:25], s[56:57], v[204:205]
	v_add_f64_e32 v[2:3], v[4:5], v[2:3]
	v_fma_f64 v[4:5], v[42:43], s[16:17], v[206:207]
	s_delay_alu instid0(VALU_DEP_1) | instskip(SKIP_1) | instid1(VALU_DEP_1)
	v_add_f64_e32 v[0:1], v[4:5], v[0:1]
	v_fma_f64 v[4:5], v[32:33], s[28:29], v[208:209]
	v_add_f64_e32 v[2:3], v[4:5], v[2:3]
	v_fma_f64 v[4:5], v[50:51], s[22:23], v[210:211]
	s_delay_alu instid0(VALU_DEP_1) | instskip(SKIP_1) | instid1(VALU_DEP_1)
	v_add_f64_e32 v[0:1], v[4:5], v[0:1]
	v_fma_f64 v[4:5], v[40:41], s[14:15], v[212:213]
	v_add_f64_e32 v[2:3], v[4:5], v[2:3]
	v_fma_f64 v[4:5], v[62:63], s[30:31], v[214:215]
	s_delay_alu instid0(VALU_DEP_1) | instskip(SKIP_1) | instid1(VALU_DEP_1)
	v_add_f64_e32 v[0:1], v[4:5], v[0:1]
	v_fma_f64 v[4:5], v[48:49], s[24:25], v[219:220]
	v_add_f64_e32 v[2:3], v[4:5], v[2:3]
	v_fma_f64 v[4:5], v[72:73], s[36:37], v[221:222]
	s_delay_alu instid0(VALU_DEP_2)
	v_add_f64_e32 v[68:69], v[6:7], v[2:3]
	scratch_load_b64 v[6:7], off, off offset:84 th:TH_LOAD_LU ; 8-byte Folded Reload
	v_add_f64_e32 v[70:71], v[4:5], v[0:1]
	v_fma_f64 v[0:1], v[20:21], s[34:35], v[165:166]
	v_fma_f64 v[2:3], v[22:23], s[34:35], -v[168:169]
	v_fma_f64 v[4:5], v[26:27], s[30:31], v[170:171]
	s_delay_alu instid0(VALU_DEP_2) | instskip(SKIP_4) | instid1(VALU_DEP_2)
	v_add_f64_e32 v[2:3], v[2:3], v[8:9]
	v_fma_f64 v[8:9], v[34:35], s[26:27], v[174:175]
	s_wait_loadcnt 0x0
	v_add_f64_e32 v[0:1], v[0:1], v[6:7]
	v_fma_f64 v[6:7], v[28:29], s[6:7], v[172:173]
	v_add_f64_e32 v[0:1], v[4:5], v[0:1]
	v_fma_f64 v[4:5], v[24:25], s[4:5], v[176:177]
	s_delay_alu instid0(VALU_DEP_3) | instskip(SKIP_1) | instid1(VALU_DEP_4)
	v_add_f64_e32 v[2:3], v[6:7], v[2:3]
	v_fma_f64 v[6:7], v[42:43], s[22:23], v[178:179]
	v_add_f64_e32 v[0:1], v[8:9], v[0:1]
	v_fma_f64 v[8:9], v[32:33], s[52:53], v[180:181]
	s_delay_alu instid0(VALU_DEP_4) | instskip(SKIP_1) | instid1(VALU_DEP_4)
	v_add_f64_e32 v[2:3], v[4:5], v[2:3]
	v_fma_f64 v[4:5], v[50:51], s[18:19], v[182:183]
	v_add_f64_e32 v[0:1], v[6:7], v[0:1]
	v_fma_f64 v[6:7], v[40:41], s[50:51], v[184:185]
	s_delay_alu instid0(VALU_DEP_4) | instskip(SKIP_1) | instid1(VALU_DEP_4)
	;; [unrolled: 5-line block ×3, first 2 shown]
	v_add_f64_e32 v[2:3], v[6:7], v[2:3]
	v_fma_f64 v[6:7], v[72:73], s[10:11], v[190:191]
	v_add_f64_e32 v[0:1], v[8:9], v[0:1]
	v_fma_f64 v[8:9], v[60:61], s[56:57], v[192:193]
	s_delay_alu instid0(VALU_DEP_4) | instskip(NEXT) | instid1(VALU_DEP_3)
	v_add_f64_e32 v[2:3], v[4:5], v[2:3]
	v_add_f64_e32 v[22:23], v[6:7], v[0:1]
	scratch_load_b32 v1, off, off offset:40 th:TH_LOAD_LU ; 4-byte Folded Reload
	v_and_b32_e32 v0, 0xffff, v110
	v_add_f64_e32 v[20:21], v[8:9], v[2:3]
	s_wait_loadcnt 0x0
	s_delay_alu instid0(VALU_DEP_2)
	v_lshl_add_u32 v0, v0, 4, v1
	scratch_load_b128 v[1:4], off, off offset:44 th:TH_LOAD_LU ; 16-byte Folded Reload
	s_wait_loadcnt 0x0
	ds_store_b128 v0, v[1:4]
	ds_store_b128 v0, v[94:97] offset:16
	ds_store_b128 v0, v[98:101] offset:32
	;; [unrolled: 1-line block ×7, first 2 shown]
	scratch_load_b128 v[1:4], off, off offset:92 th:TH_LOAD_LU ; 16-byte Folded Reload
	s_wait_loadcnt 0x0
	ds_store_b128 v0, v[1:4] offset:128
	scratch_load_b128 v[1:4], off, off offset:60 th:TH_LOAD_LU ; 16-byte Folded Reload
	s_wait_loadcnt 0x0
	ds_store_b128 v0, v[1:4] offset:144
	ds_store_b128 v0, v[145:148] offset:160
	;; [unrolled: 1-line block ×6, first 2 shown]
	scratch_load_b32 v72, off, off          ; 4-byte Folded Reload
	ds_store_b128 v0, v[68:71] offset:240
	ds_store_b128 v0, v[20:23] offset:256
.LBB0_13:
	s_or_b32 exec_lo, exec_lo, s33
	global_wb scope:SCOPE_SE
	s_wait_storecnt 0x0
	s_wait_loadcnt_dscnt 0x0
	s_barrier_signal -1
	s_barrier_wait -1
	global_inv scope:SCOPE_SE
	ds_load_b128 v[4:7], v84 offset:272
	s_and_b32 s4, exec_lo, vcc_lo
	s_wait_dscnt 0x0
	v_mul_f64_e32 v[0:1], v[253:254], v[6:7]
	v_mul_f64_e32 v[2:3], v[253:254], v[4:5]
	s_delay_alu instid0(VALU_DEP_2) | instskip(NEXT) | instid1(VALU_DEP_2)
	v_fma_f64 v[4:5], v[251:252], v[4:5], v[0:1]
	v_fma_f64 v[6:7], v[251:252], v[6:7], -v[2:3]
	ds_load_b128 v[0:3], v84
	s_wait_dscnt 0x0
	v_add_f64_e64 v[4:5], v[0:1], -v[4:5]
	v_add_f64_e64 v[6:7], v[2:3], -v[6:7]
	s_delay_alu instid0(VALU_DEP_2) | instskip(NEXT) | instid1(VALU_DEP_2)
	v_fma_f64 v[0:1], v[0:1], 2.0, -v[4:5]
	v_fma_f64 v[2:3], v[2:3], 2.0, -v[6:7]
	ds_store_b128 v255, v[0:3]
	ds_store_b128 v255, v[4:7] offset:272
	global_wb scope:SCOPE_SE
	s_wait_dscnt 0x0
	s_barrier_signal -1
	s_barrier_wait -1
	global_inv scope:SCOPE_SE
	scratch_load_b64 v[10:11], off, off offset:8 ; 8-byte Folded Reload
	s_wait_alu 0xfffe
	s_mov_b32 exec_lo, s4
	s_cbranch_execz .LBB0_15
; %bb.14:
	global_load_b128 v[0:3], v218, s[8:9]
	scratch_load_b32 v4, off, off offset:4 th:TH_LOAD_LU ; 4-byte Folded Reload
	s_mov_b32 s4, 0x1e1e1e1e
	s_mov_b32 s5, 0x3f9e1e1e
	s_wait_loadcnt 0x0
	ds_load_b128 v[4:7], v4
	s_wait_dscnt 0x0
	v_mul_f64_e32 v[8:9], v[6:7], v[2:3]
	v_mul_f64_e32 v[2:3], v[4:5], v[2:3]
	s_delay_alu instid0(VALU_DEP_2) | instskip(NEXT) | instid1(VALU_DEP_2)
	v_fma_f64 v[4:5], v[4:5], v[0:1], v[8:9]
	v_fma_f64 v[0:1], v[0:1], v[6:7], -v[2:3]
	v_mad_co_u64_u32 v[6:7], null, s2, v10, 0
	v_mad_co_u64_u32 v[8:9], null, s0, v217, 0
	s_wait_alu 0xfffe
	s_delay_alu instid0(VALU_DEP_4) | instskip(NEXT) | instid1(VALU_DEP_4)
	v_mul_f64_e32 v[2:3], s[4:5], v[4:5]
	v_mul_f64_e32 v[4:5], s[4:5], v[0:1]
	s_delay_alu instid0(VALU_DEP_3) | instskip(NEXT) | instid1(VALU_DEP_1)
	v_dual_mov_b32 v0, v7 :: v_dual_mov_b32 v1, v9
	v_mad_co_u64_u32 v[9:10], null, s3, v10, v[0:1]
	s_delay_alu instid0(VALU_DEP_1) | instskip(SKIP_1) | instid1(VALU_DEP_1)
	v_mov_b32_e32 v7, v9
	v_mad_co_u64_u32 v[0:1], null, s1, v217, v[1:2]
	v_mov_b32_e32 v9, v0
	s_delay_alu instid0(VALU_DEP_3) | instskip(NEXT) | instid1(VALU_DEP_2)
	v_lshlrev_b64_e32 v[0:1], 4, v[6:7]
	v_lshlrev_b64_e32 v[6:7], 4, v[8:9]
	s_delay_alu instid0(VALU_DEP_2) | instskip(NEXT) | instid1(VALU_DEP_3)
	v_add_co_u32 v0, vcc_lo, s12, v0
	v_add_co_ci_u32_e32 v1, vcc_lo, s13, v1, vcc_lo
	s_delay_alu instid0(VALU_DEP_2) | instskip(SKIP_1) | instid1(VALU_DEP_2)
	v_add_co_u32 v6, vcc_lo, v0, v6
	s_wait_alu 0xfffd
	v_add_co_ci_u32_e32 v7, vcc_lo, v1, v7, vcc_lo
	global_store_b128 v[6:7], v[2:5], off
	global_load_b128 v[3:6], v218, s[8:9] offset:32
	v_lshl_add_u32 v2, v72, 4, v218
	ds_load_b128 v[7:10], v2 offset:32
	ds_load_b128 v[11:14], v2 offset:64
	s_wait_loadcnt_dscnt 0x1
	v_mul_f64_e32 v[15:16], v[9:10], v[5:6]
	v_mul_f64_e32 v[5:6], v[7:8], v[5:6]
	s_delay_alu instid0(VALU_DEP_2) | instskip(SKIP_3) | instid1(VALU_DEP_2)
	v_fma_f64 v[7:8], v[7:8], v[3:4], v[15:16]
	scratch_load_b32 v15, off, off offset:36 th:TH_LOAD_LU ; 4-byte Folded Reload
	v_fma_f64 v[5:6], v[3:4], v[9:10], -v[5:6]
	v_mul_f64_e32 v[3:4], s[4:5], v[7:8]
	v_mul_f64_e32 v[5:6], s[4:5], v[5:6]
	s_wait_loadcnt 0x0
	v_mad_co_u64_u32 v[9:10], null, s0, v15, 0
	s_delay_alu instid0(VALU_DEP_1) | instskip(NEXT) | instid1(VALU_DEP_1)
	v_mov_b32_e32 v7, v10
	v_mad_co_u64_u32 v[7:8], null, s1, v15, v[7:8]
	s_delay_alu instid0(VALU_DEP_1) | instskip(NEXT) | instid1(VALU_DEP_1)
	v_mov_b32_e32 v10, v7
	v_lshlrev_b64_e32 v[7:8], 4, v[9:10]
	s_delay_alu instid0(VALU_DEP_1) | instskip(SKIP_1) | instid1(VALU_DEP_2)
	v_add_co_u32 v7, vcc_lo, v0, v7
	s_wait_alu 0xfffd
	v_add_co_ci_u32_e32 v8, vcc_lo, v1, v8, vcc_lo
	global_store_b128 v[7:8], v[3:6], off
	global_load_b128 v[3:6], v218, s[8:9] offset:64
	s_wait_loadcnt_dscnt 0x0
	v_mul_f64_e32 v[7:8], v[13:14], v[5:6]
	v_mul_f64_e32 v[5:6], v[11:12], v[5:6]
	s_delay_alu instid0(VALU_DEP_2) | instskip(SKIP_3) | instid1(VALU_DEP_2)
	v_fma_f64 v[7:8], v[11:12], v[3:4], v[7:8]
	scratch_load_b32 v11, off, off offset:32 th:TH_LOAD_LU ; 4-byte Folded Reload
	v_fma_f64 v[5:6], v[3:4], v[13:14], -v[5:6]
	v_mul_f64_e32 v[3:4], s[4:5], v[7:8]
	v_mul_f64_e32 v[5:6], s[4:5], v[5:6]
	s_wait_loadcnt 0x0
	v_mad_co_u64_u32 v[9:10], null, s0, v11, 0
	s_delay_alu instid0(VALU_DEP_1) | instskip(NEXT) | instid1(VALU_DEP_1)
	v_mov_b32_e32 v7, v10
	v_mad_co_u64_u32 v[7:8], null, s1, v11, v[7:8]
	s_delay_alu instid0(VALU_DEP_1) | instskip(NEXT) | instid1(VALU_DEP_1)
	v_mov_b32_e32 v10, v7
	v_lshlrev_b64_e32 v[7:8], 4, v[9:10]
	s_delay_alu instid0(VALU_DEP_1) | instskip(SKIP_1) | instid1(VALU_DEP_2)
	v_add_co_u32 v7, vcc_lo, v0, v7
	s_wait_alu 0xfffd
	v_add_co_ci_u32_e32 v8, vcc_lo, v1, v8, vcc_lo
	global_store_b128 v[7:8], v[3:6], off
	global_load_b128 v[3:6], v218, s[8:9] offset:96
	ds_load_b128 v[7:10], v2 offset:96
	ds_load_b128 v[11:14], v2 offset:128
	s_wait_loadcnt_dscnt 0x1
	v_mul_f64_e32 v[15:16], v[9:10], v[5:6]
	v_mul_f64_e32 v[5:6], v[7:8], v[5:6]
	s_delay_alu instid0(VALU_DEP_2) | instskip(SKIP_3) | instid1(VALU_DEP_2)
	v_fma_f64 v[7:8], v[7:8], v[3:4], v[15:16]
	scratch_load_b32 v15, off, off offset:28 th:TH_LOAD_LU ; 4-byte Folded Reload
	v_fma_f64 v[5:6], v[3:4], v[9:10], -v[5:6]
	v_mul_f64_e32 v[3:4], s[4:5], v[7:8]
	v_mul_f64_e32 v[5:6], s[4:5], v[5:6]
	s_wait_loadcnt 0x0
	v_mad_co_u64_u32 v[9:10], null, s0, v15, 0
	s_delay_alu instid0(VALU_DEP_1) | instskip(NEXT) | instid1(VALU_DEP_1)
	v_mov_b32_e32 v7, v10
	v_mad_co_u64_u32 v[7:8], null, s1, v15, v[7:8]
	s_delay_alu instid0(VALU_DEP_1) | instskip(NEXT) | instid1(VALU_DEP_1)
	v_mov_b32_e32 v10, v7
	v_lshlrev_b64_e32 v[7:8], 4, v[9:10]
	s_delay_alu instid0(VALU_DEP_1) | instskip(SKIP_1) | instid1(VALU_DEP_2)
	v_add_co_u32 v7, vcc_lo, v0, v7
	s_wait_alu 0xfffd
	v_add_co_ci_u32_e32 v8, vcc_lo, v1, v8, vcc_lo
	global_store_b128 v[7:8], v[3:6], off
	global_load_b128 v[3:6], v218, s[8:9] offset:128
	s_wait_loadcnt_dscnt 0x0
	v_mul_f64_e32 v[7:8], v[13:14], v[5:6]
	v_mul_f64_e32 v[5:6], v[11:12], v[5:6]
	s_delay_alu instid0(VALU_DEP_2) | instskip(SKIP_3) | instid1(VALU_DEP_2)
	v_fma_f64 v[7:8], v[11:12], v[3:4], v[7:8]
	scratch_load_b32 v11, off, off offset:24 th:TH_LOAD_LU ; 4-byte Folded Reload
	v_fma_f64 v[5:6], v[3:4], v[13:14], -v[5:6]
	v_mul_f64_e32 v[3:4], s[4:5], v[7:8]
	v_mul_f64_e32 v[5:6], s[4:5], v[5:6]
	s_wait_loadcnt 0x0
	v_mad_co_u64_u32 v[9:10], null, s0, v11, 0
	s_delay_alu instid0(VALU_DEP_1) | instskip(NEXT) | instid1(VALU_DEP_1)
	v_mov_b32_e32 v7, v10
	v_mad_co_u64_u32 v[7:8], null, s1, v11, v[7:8]
	s_delay_alu instid0(VALU_DEP_1) | instskip(NEXT) | instid1(VALU_DEP_1)
	v_mov_b32_e32 v10, v7
	v_lshlrev_b64_e32 v[7:8], 4, v[9:10]
	s_delay_alu instid0(VALU_DEP_1) | instskip(SKIP_1) | instid1(VALU_DEP_2)
	v_add_co_u32 v7, vcc_lo, v0, v7
	s_wait_alu 0xfffd
	v_add_co_ci_u32_e32 v8, vcc_lo, v1, v8, vcc_lo
	global_store_b128 v[7:8], v[3:6], off
	global_load_b128 v[3:6], v218, s[8:9] offset:160
	;; [unrolled: 48-line block ×3, first 2 shown]
	ds_load_b128 v[7:10], v2 offset:224
	ds_load_b128 v[11:14], v2 offset:256
	s_wait_loadcnt_dscnt 0x1
	v_mul_f64_e32 v[15:16], v[9:10], v[5:6]
	v_mul_f64_e32 v[5:6], v[7:8], v[5:6]
	s_delay_alu instid0(VALU_DEP_2) | instskip(NEXT) | instid1(VALU_DEP_2)
	v_fma_f64 v[7:8], v[7:8], v[3:4], v[15:16]
	v_fma_f64 v[5:6], v[3:4], v[9:10], -v[5:6]
	v_mad_co_u64_u32 v[9:10], null, s0, v234, 0
	s_delay_alu instid0(VALU_DEP_3) | instskip(NEXT) | instid1(VALU_DEP_3)
	v_mul_f64_e32 v[3:4], s[4:5], v[7:8]
	v_mul_f64_e32 v[5:6], s[4:5], v[5:6]
	s_delay_alu instid0(VALU_DEP_3) | instskip(NEXT) | instid1(VALU_DEP_1)
	v_mov_b32_e32 v7, v10
	v_mad_co_u64_u32 v[7:8], null, s1, v234, v[7:8]
	s_delay_alu instid0(VALU_DEP_1) | instskip(NEXT) | instid1(VALU_DEP_1)
	v_mov_b32_e32 v10, v7
	v_lshlrev_b64_e32 v[7:8], 4, v[9:10]
	v_mad_co_u64_u32 v[9:10], null, s0, v233, 0
	s_delay_alu instid0(VALU_DEP_2) | instskip(SKIP_1) | instid1(VALU_DEP_3)
	v_add_co_u32 v7, vcc_lo, v0, v7
	s_wait_alu 0xfffd
	v_add_co_ci_u32_e32 v8, vcc_lo, v1, v8, vcc_lo
	global_store_b128 v[7:8], v[3:6], off
	global_load_b128 v[3:6], v218, s[8:9] offset:256
	s_wait_loadcnt_dscnt 0x0
	v_mul_f64_e32 v[7:8], v[13:14], v[5:6]
	v_mul_f64_e32 v[5:6], v[11:12], v[5:6]
	s_delay_alu instid0(VALU_DEP_2) | instskip(NEXT) | instid1(VALU_DEP_2)
	v_fma_f64 v[7:8], v[11:12], v[3:4], v[7:8]
	v_fma_f64 v[5:6], v[3:4], v[13:14], -v[5:6]
	s_delay_alu instid0(VALU_DEP_2) | instskip(NEXT) | instid1(VALU_DEP_2)
	v_mul_f64_e32 v[3:4], s[4:5], v[7:8]
	v_mul_f64_e32 v[5:6], s[4:5], v[5:6]
	v_mov_b32_e32 v7, v10
	s_delay_alu instid0(VALU_DEP_1) | instskip(NEXT) | instid1(VALU_DEP_1)
	v_mad_co_u64_u32 v[7:8], null, s1, v233, v[7:8]
	v_mov_b32_e32 v10, v7
	s_delay_alu instid0(VALU_DEP_1) | instskip(NEXT) | instid1(VALU_DEP_1)
	v_lshlrev_b64_e32 v[7:8], 4, v[9:10]
	v_add_co_u32 v7, vcc_lo, v0, v7
	s_wait_alu 0xfffd
	s_delay_alu instid0(VALU_DEP_2)
	v_add_co_ci_u32_e32 v8, vcc_lo, v1, v8, vcc_lo
	global_store_b128 v[7:8], v[3:6], off
	global_load_b128 v[3:6], v218, s[8:9] offset:288
	ds_load_b128 v[7:10], v2 offset:288
	ds_load_b128 v[11:14], v2 offset:320
	s_wait_loadcnt_dscnt 0x1
	v_mul_f64_e32 v[15:16], v[9:10], v[5:6]
	v_mul_f64_e32 v[5:6], v[7:8], v[5:6]
	s_delay_alu instid0(VALU_DEP_2) | instskip(NEXT) | instid1(VALU_DEP_2)
	v_fma_f64 v[7:8], v[7:8], v[3:4], v[15:16]
	v_fma_f64 v[5:6], v[3:4], v[9:10], -v[5:6]
	v_mad_co_u64_u32 v[9:10], null, s0, v232, 0
	s_delay_alu instid0(VALU_DEP_3) | instskip(NEXT) | instid1(VALU_DEP_3)
	v_mul_f64_e32 v[3:4], s[4:5], v[7:8]
	v_mul_f64_e32 v[5:6], s[4:5], v[5:6]
	s_delay_alu instid0(VALU_DEP_3) | instskip(NEXT) | instid1(VALU_DEP_1)
	v_mov_b32_e32 v7, v10
	v_mad_co_u64_u32 v[7:8], null, s1, v232, v[7:8]
	s_delay_alu instid0(VALU_DEP_1) | instskip(NEXT) | instid1(VALU_DEP_1)
	v_mov_b32_e32 v10, v7
	v_lshlrev_b64_e32 v[7:8], 4, v[9:10]
	v_mad_co_u64_u32 v[9:10], null, s0, v231, 0
	s_delay_alu instid0(VALU_DEP_2) | instskip(SKIP_1) | instid1(VALU_DEP_3)
	v_add_co_u32 v7, vcc_lo, v0, v7
	s_wait_alu 0xfffd
	v_add_co_ci_u32_e32 v8, vcc_lo, v1, v8, vcc_lo
	global_store_b128 v[7:8], v[3:6], off
	global_load_b128 v[3:6], v218, s[8:9] offset:320
	s_wait_loadcnt_dscnt 0x0
	v_mul_f64_e32 v[7:8], v[13:14], v[5:6]
	v_mul_f64_e32 v[5:6], v[11:12], v[5:6]
	s_delay_alu instid0(VALU_DEP_2) | instskip(NEXT) | instid1(VALU_DEP_2)
	v_fma_f64 v[7:8], v[11:12], v[3:4], v[7:8]
	v_fma_f64 v[5:6], v[3:4], v[13:14], -v[5:6]
	s_delay_alu instid0(VALU_DEP_2) | instskip(NEXT) | instid1(VALU_DEP_2)
	v_mul_f64_e32 v[3:4], s[4:5], v[7:8]
	v_mul_f64_e32 v[5:6], s[4:5], v[5:6]
	v_mov_b32_e32 v7, v10
	s_delay_alu instid0(VALU_DEP_1) | instskip(NEXT) | instid1(VALU_DEP_1)
	v_mad_co_u64_u32 v[7:8], null, s1, v231, v[7:8]
	v_mov_b32_e32 v10, v7
	s_delay_alu instid0(VALU_DEP_1) | instskip(NEXT) | instid1(VALU_DEP_1)
	v_lshlrev_b64_e32 v[7:8], 4, v[9:10]
	v_add_co_u32 v7, vcc_lo, v0, v7
	s_wait_alu 0xfffd
	s_delay_alu instid0(VALU_DEP_2)
	v_add_co_ci_u32_e32 v8, vcc_lo, v1, v8, vcc_lo
	global_store_b128 v[7:8], v[3:6], off
	global_load_b128 v[3:6], v218, s[8:9] offset:352
	;; [unrolled: 46-line block ×3, first 2 shown]
	ds_load_b128 v[7:10], v2 offset:416
	ds_load_b128 v[11:14], v2 offset:448
	s_wait_loadcnt_dscnt 0x1
	v_mul_f64_e32 v[15:16], v[9:10], v[5:6]
	v_mul_f64_e32 v[5:6], v[7:8], v[5:6]
	s_delay_alu instid0(VALU_DEP_2) | instskip(NEXT) | instid1(VALU_DEP_2)
	v_fma_f64 v[7:8], v[7:8], v[3:4], v[15:16]
	v_fma_f64 v[5:6], v[3:4], v[9:10], -v[5:6]
	v_mad_co_u64_u32 v[9:10], null, s0, v229, 0
	s_delay_alu instid0(VALU_DEP_3) | instskip(NEXT) | instid1(VALU_DEP_3)
	v_mul_f64_e32 v[3:4], s[4:5], v[7:8]
	v_mul_f64_e32 v[5:6], s[4:5], v[5:6]
	s_delay_alu instid0(VALU_DEP_3) | instskip(NEXT) | instid1(VALU_DEP_1)
	v_mov_b32_e32 v7, v10
	v_mad_co_u64_u32 v[7:8], null, s1, v229, v[7:8]
	s_delay_alu instid0(VALU_DEP_1) | instskip(NEXT) | instid1(VALU_DEP_1)
	v_mov_b32_e32 v10, v7
	v_lshlrev_b64_e32 v[7:8], 4, v[9:10]
	s_delay_alu instid0(VALU_DEP_1) | instskip(SKIP_1) | instid1(VALU_DEP_2)
	v_add_co_u32 v7, vcc_lo, v0, v7
	s_wait_alu 0xfffd
	v_add_co_ci_u32_e32 v8, vcc_lo, v1, v8, vcc_lo
	global_store_b128 v[7:8], v[3:6], off
	global_load_b128 v[3:6], v218, s[8:9] offset:448
	s_wait_loadcnt_dscnt 0x0
	v_mul_f64_e32 v[7:8], v[13:14], v[5:6]
	v_mul_f64_e32 v[5:6], v[11:12], v[5:6]
	s_delay_alu instid0(VALU_DEP_2) | instskip(NEXT) | instid1(VALU_DEP_2)
	v_fma_f64 v[7:8], v[11:12], v[3:4], v[7:8]
	v_fma_f64 v[5:6], v[3:4], v[13:14], -v[5:6]
	v_or_b32_e32 v11, 28, v217
	s_delay_alu instid0(VALU_DEP_1) | instskip(NEXT) | instid1(VALU_DEP_4)
	v_mad_co_u64_u32 v[9:10], null, s0, v11, 0
	v_mul_f64_e32 v[3:4], s[4:5], v[7:8]
	s_delay_alu instid0(VALU_DEP_4) | instskip(NEXT) | instid1(VALU_DEP_3)
	v_mul_f64_e32 v[5:6], s[4:5], v[5:6]
	v_mov_b32_e32 v7, v10
	s_delay_alu instid0(VALU_DEP_1) | instskip(NEXT) | instid1(VALU_DEP_1)
	v_mad_co_u64_u32 v[7:8], null, s1, v11, v[7:8]
	v_mov_b32_e32 v10, v7
	s_delay_alu instid0(VALU_DEP_1) | instskip(NEXT) | instid1(VALU_DEP_1)
	v_lshlrev_b64_e32 v[7:8], 4, v[9:10]
	v_add_co_u32 v7, vcc_lo, v0, v7
	s_wait_alu 0xfffd
	s_delay_alu instid0(VALU_DEP_2)
	v_add_co_ci_u32_e32 v8, vcc_lo, v1, v8, vcc_lo
	global_store_b128 v[7:8], v[3:6], off
	global_load_b128 v[3:6], v218, s[8:9] offset:480
	ds_load_b128 v[7:10], v2 offset:480
	ds_load_b128 v[11:14], v2 offset:512
	s_wait_loadcnt_dscnt 0x1
	v_mul_f64_e32 v[15:16], v[9:10], v[5:6]
	v_mul_f64_e32 v[5:6], v[7:8], v[5:6]
	s_delay_alu instid0(VALU_DEP_2) | instskip(NEXT) | instid1(VALU_DEP_2)
	v_fma_f64 v[7:8], v[7:8], v[3:4], v[15:16]
	v_fma_f64 v[4:5], v[3:4], v[9:10], -v[5:6]
	v_or_b32_e32 v15, 30, v217
	s_delay_alu instid0(VALU_DEP_1) | instskip(NEXT) | instid1(VALU_DEP_1)
	v_mad_co_u64_u32 v[9:10], null, s0, v15, 0
	v_mov_b32_e32 v6, v10
	v_mul_f64_e32 v[2:3], s[4:5], v[7:8]
	v_mul_f64_e32 v[4:5], s[4:5], v[4:5]
	s_delay_alu instid0(VALU_DEP_3) | instskip(NEXT) | instid1(VALU_DEP_1)
	v_mad_co_u64_u32 v[6:7], null, s1, v15, v[6:7]
	v_mov_b32_e32 v10, v6
	s_delay_alu instid0(VALU_DEP_1) | instskip(SKIP_1) | instid1(VALU_DEP_2)
	v_lshlrev_b64_e32 v[6:7], 4, v[9:10]
	v_or_b32_e32 v10, 32, v217
	v_add_co_u32 v6, vcc_lo, v0, v6
	s_wait_alu 0xfffd
	s_delay_alu instid0(VALU_DEP_3) | instskip(NEXT) | instid1(VALU_DEP_3)
	v_add_co_ci_u32_e32 v7, vcc_lo, v1, v7, vcc_lo
	v_mad_co_u64_u32 v[8:9], null, s0, v10, 0
	global_store_b128 v[6:7], v[2:5], off
	global_load_b128 v[2:5], v218, s[8:9] offset:512
	s_wait_loadcnt_dscnt 0x0
	v_mul_f64_e32 v[6:7], v[13:14], v[4:5]
	v_mul_f64_e32 v[4:5], v[11:12], v[4:5]
	s_delay_alu instid0(VALU_DEP_2) | instskip(NEXT) | instid1(VALU_DEP_2)
	v_fma_f64 v[6:7], v[11:12], v[2:3], v[6:7]
	v_fma_f64 v[4:5], v[2:3], v[13:14], -v[4:5]
	s_delay_alu instid0(VALU_DEP_2) | instskip(NEXT) | instid1(VALU_DEP_2)
	v_mul_f64_e32 v[2:3], s[4:5], v[6:7]
	v_mul_f64_e32 v[4:5], s[4:5], v[4:5]
	v_mov_b32_e32 v6, v9
	s_delay_alu instid0(VALU_DEP_1) | instskip(NEXT) | instid1(VALU_DEP_1)
	v_mad_co_u64_u32 v[6:7], null, s1, v10, v[6:7]
	v_mov_b32_e32 v9, v6
	s_delay_alu instid0(VALU_DEP_1) | instskip(NEXT) | instid1(VALU_DEP_1)
	v_lshlrev_b64_e32 v[6:7], 4, v[8:9]
	v_add_co_u32 v0, vcc_lo, v0, v6
	s_wait_alu 0xfffd
	s_delay_alu instid0(VALU_DEP_2)
	v_add_co_ci_u32_e32 v1, vcc_lo, v1, v7, vcc_lo
	global_store_b128 v[0:1], v[2:5], off
.LBB0_15:
	s_nop 0
	s_sendmsg sendmsg(MSG_DEALLOC_VGPRS)
	s_endpgm
	.section	.rodata,"a",@progbits
	.p2align	6, 0x0
	.amdhsa_kernel bluestein_single_fwd_len34_dim1_dp_op_CI_CI
		.amdhsa_group_segment_fixed_size 8160
		.amdhsa_private_segment_fixed_size 160
		.amdhsa_kernarg_size 104
		.amdhsa_user_sgpr_count 2
		.amdhsa_user_sgpr_dispatch_ptr 0
		.amdhsa_user_sgpr_queue_ptr 0
		.amdhsa_user_sgpr_kernarg_segment_ptr 1
		.amdhsa_user_sgpr_dispatch_id 0
		.amdhsa_user_sgpr_private_segment_size 0
		.amdhsa_wavefront_size32 1
		.amdhsa_uses_dynamic_stack 0
		.amdhsa_enable_private_segment 1
		.amdhsa_system_sgpr_workgroup_id_x 1
		.amdhsa_system_sgpr_workgroup_id_y 0
		.amdhsa_system_sgpr_workgroup_id_z 0
		.amdhsa_system_sgpr_workgroup_info 0
		.amdhsa_system_vgpr_workitem_id 0
		.amdhsa_next_free_vgpr 256
		.amdhsa_next_free_sgpr 58
		.amdhsa_reserve_vcc 1
		.amdhsa_float_round_mode_32 0
		.amdhsa_float_round_mode_16_64 0
		.amdhsa_float_denorm_mode_32 3
		.amdhsa_float_denorm_mode_16_64 3
		.amdhsa_fp16_overflow 0
		.amdhsa_workgroup_processor_mode 1
		.amdhsa_memory_ordered 1
		.amdhsa_forward_progress 0
		.amdhsa_round_robin_scheduling 0
		.amdhsa_exception_fp_ieee_invalid_op 0
		.amdhsa_exception_fp_denorm_src 0
		.amdhsa_exception_fp_ieee_div_zero 0
		.amdhsa_exception_fp_ieee_overflow 0
		.amdhsa_exception_fp_ieee_underflow 0
		.amdhsa_exception_fp_ieee_inexact 0
		.amdhsa_exception_int_div_zero 0
	.end_amdhsa_kernel
	.text
.Lfunc_end0:
	.size	bluestein_single_fwd_len34_dim1_dp_op_CI_CI, .Lfunc_end0-bluestein_single_fwd_len34_dim1_dp_op_CI_CI
                                        ; -- End function
	.section	.AMDGPU.csdata,"",@progbits
; Kernel info:
; codeLenInByte = 17268
; NumSgprs: 60
; NumVgprs: 256
; ScratchSize: 160
; MemoryBound: 0
; FloatMode: 240
; IeeeMode: 1
; LDSByteSize: 8160 bytes/workgroup (compile time only)
; SGPRBlocks: 7
; VGPRBlocks: 31
; NumSGPRsForWavesPerEU: 60
; NumVGPRsForWavesPerEU: 256
; Occupancy: 5
; WaveLimiterHint : 1
; COMPUTE_PGM_RSRC2:SCRATCH_EN: 1
; COMPUTE_PGM_RSRC2:USER_SGPR: 2
; COMPUTE_PGM_RSRC2:TRAP_HANDLER: 0
; COMPUTE_PGM_RSRC2:TGID_X_EN: 1
; COMPUTE_PGM_RSRC2:TGID_Y_EN: 0
; COMPUTE_PGM_RSRC2:TGID_Z_EN: 0
; COMPUTE_PGM_RSRC2:TIDIG_COMP_CNT: 0
	.text
	.p2alignl 7, 3214868480
	.fill 96, 4, 3214868480
	.type	__hip_cuid_b7152c099010d56b,@object ; @__hip_cuid_b7152c099010d56b
	.section	.bss,"aw",@nobits
	.globl	__hip_cuid_b7152c099010d56b
__hip_cuid_b7152c099010d56b:
	.byte	0                               ; 0x0
	.size	__hip_cuid_b7152c099010d56b, 1

	.ident	"AMD clang version 19.0.0git (https://github.com/RadeonOpenCompute/llvm-project roc-6.4.0 25133 c7fe45cf4b819c5991fe208aaa96edf142730f1d)"
	.section	".note.GNU-stack","",@progbits
	.addrsig
	.addrsig_sym __hip_cuid_b7152c099010d56b
	.amdgpu_metadata
---
amdhsa.kernels:
  - .args:
      - .actual_access:  read_only
        .address_space:  global
        .offset:         0
        .size:           8
        .value_kind:     global_buffer
      - .actual_access:  read_only
        .address_space:  global
        .offset:         8
        .size:           8
        .value_kind:     global_buffer
      - .actual_access:  read_only
        .address_space:  global
        .offset:         16
        .size:           8
        .value_kind:     global_buffer
      - .actual_access:  read_only
        .address_space:  global
        .offset:         24
        .size:           8
        .value_kind:     global_buffer
      - .actual_access:  read_only
        .address_space:  global
        .offset:         32
        .size:           8
        .value_kind:     global_buffer
      - .offset:         40
        .size:           8
        .value_kind:     by_value
      - .address_space:  global
        .offset:         48
        .size:           8
        .value_kind:     global_buffer
      - .address_space:  global
        .offset:         56
        .size:           8
        .value_kind:     global_buffer
      - .address_space:  global
        .offset:         64
        .size:           8
        .value_kind:     global_buffer
      - .address_space:  global
        .offset:         72
        .size:           8
        .value_kind:     global_buffer
      - .offset:         80
        .size:           4
        .value_kind:     by_value
      - .address_space:  global
        .offset:         88
        .size:           8
        .value_kind:     global_buffer
      - .address_space:  global
        .offset:         96
        .size:           8
        .value_kind:     global_buffer
    .group_segment_fixed_size: 8160
    .kernarg_segment_align: 8
    .kernarg_segment_size: 104
    .language:       OpenCL C
    .language_version:
      - 2
      - 0
    .max_flat_workgroup_size: 255
    .name:           bluestein_single_fwd_len34_dim1_dp_op_CI_CI
    .private_segment_fixed_size: 160
    .sgpr_count:     60
    .sgpr_spill_count: 0
    .symbol:         bluestein_single_fwd_len34_dim1_dp_op_CI_CI.kd
    .uniform_work_group_size: 1
    .uses_dynamic_stack: false
    .vgpr_count:     256
    .vgpr_spill_count: 39
    .wavefront_size: 32
    .workgroup_processor_mode: 1
amdhsa.target:   amdgcn-amd-amdhsa--gfx1201
amdhsa.version:
  - 1
  - 2
...

	.end_amdgpu_metadata
